;; amdgpu-corpus repo=zjin-lcf/HeCBench kind=compiled arch=gfx950 opt=O3
	.amdgcn_target "amdgcn-amd-amdhsa--gfx950"
	.amdhsa_code_object_version 6
	.text
	.protected	_Z14genScoreKerneliPfPKiPKf ; -- Begin function _Z14genScoreKerneliPfPKiPKf
	.globl	_Z14genScoreKerneliPfPKiPKf
	.p2align	8
	.type	_Z14genScoreKerneliPfPKiPKf,@function
_Z14genScoreKerneliPfPKiPKf:            ; @_Z14genScoreKerneliPfPKiPKf
; %bb.0:
	s_load_dword s33, s[0:1], 0x0
	s_mov_b32 s4, 0
	s_mov_b32 s5, s4
	v_lshl_add_u32 v13, s2, 8, v0
	s_mov_b32 s6, s4
	s_mov_b32 s7, s4
	v_mov_b64_e32 v[0:1], s[4:5]
	v_mov_b32_e32 v4, 0
	v_mov_b64_e32 v[2:3], s[6:7]
	s_waitcnt lgkmcnt(0)
	v_cmp_gt_i32_e32 vcc, s33, v13
	scratch_store_dword off, v4, off offset:176
	scratch_store_dwordx4 off, v[0:3], off offset:160
	scratch_store_dwordx4 off, v[0:3], off offset:144
	;; [unrolled: 1-line block ×10, first 2 shown]
	scratch_store_dwordx4 off, v[0:3], off
	s_and_saveexec_b64 s[2:3], vcc
	s_cbranch_execz .LBB0_215
; %bb.1:
	v_mov_b32_e32 v3, -1
	v_cmp_ne_u32_e32 vcc, 0, v13
	v_mov_b32_e32 v2, v3
	v_mov_b32_e32 v1, v3
	;; [unrolled: 1-line block ×3, first 2 shown]
	s_and_saveexec_b64 s[6:7], vcc
	s_cbranch_execz .LBB0_61
; %bb.2:
	v_mov_b32_e32 v4, 0
	v_cmp_lt_i32_e32 vcc, 0, v13
	v_mov_b32_e32 v6, 1
	s_and_saveexec_b64 s[2:3], vcc
	s_cbranch_execz .LBB0_14
; %bb.3:
	s_mov_b32 s10, 0
	s_mov_b32 s11, 1
	s_mov_b64 s[4:5], 0
.LBB0_4:                                ; =>This Loop Header: Depth=1
                                        ;     Child Loop BB0_6 Depth 2
                                        ;     Child Loop BB0_9 Depth 2
	;; [unrolled: 1-line block ×3, first 2 shown]
	s_mov_b64 s[8:9], -1
	s_cmp_lt_u32 s11, 4
	s_mov_b32 s13, 0
	s_mov_b32 s12, 1
	;; [unrolled: 1-line block ×3, first 2 shown]
	s_cbranch_scc1 .LBB0_8
; %bb.5:                                ;   in Loop: Header=BB0_4 Depth=1
	s_and_b32 s9, s11, -4
	s_mov_b32 s8, 1
	s_mov_b32 s12, 43
	;; [unrolled: 1-line block ×6, first 2 shown]
.LBB0_6:                                ;   Parent Loop BB0_4 Depth=1
                                        ; =>  This Inner Loop Header: Depth=2
	s_add_i32 s14, s13, -2
	s_add_i32 s18, s12, -2
	s_mul_i32 s15, s15, s12
	s_mul_i32 s8, s8, s13
	s_add_i32 s13, s13, -4
	s_add_i32 s12, s12, -4
	;; [unrolled: 1-line block ×3, first 2 shown]
	s_mul_i32 s17, s17, s18
	s_cmp_lg_u32 s9, 0
	s_mul_i32 s16, s16, s14
	s_cbranch_scc1 .LBB0_6
; %bb.7:                                ;   in Loop: Header=BB0_4 Depth=1
	s_and_b32 s13, s11, 0x7ffffffc
	s_sub_i32 s14, 44, s13
	s_mul_i32 s9, s17, s15
	s_mul_i32 s8, s16, s8
	s_cmp_lg_u32 s11, s13
	s_mul_i32 s12, s8, s9
	s_cselect_b64 s[8:9], -1, 0
.LBB0_8:                                ;   in Loop: Header=BB0_4 Depth=1
	s_and_b64 vcc, exec, s[8:9]
	s_cbranch_vccz .LBB0_10
.LBB0_9:                                ;   Parent Loop BB0_4 Depth=1
                                        ; =>  This Inner Loop Header: Depth=2
	s_mul_i32 s12, s12, s14
	s_add_i32 s14, s14, -1
	s_add_i32 s13, s13, 1
	s_cmp_lg_u32 s11, s13
	s_cbranch_scc1 .LBB0_9
.LBB0_10:                               ;   in Loop: Header=BB0_4 Depth=1
	s_mov_b32 s8, s11
.LBB0_11:                               ;   Parent Loop BB0_4 Depth=1
                                        ; =>  This Inner Loop Header: Depth=2
	s_abs_i32 s13, s8
	v_cvt_f32_u32_e32 v0, s13
	s_sub_i32 s14, 0, s13
	s_xor_b32 s9, s12, s8
	s_abs_i32 s12, s12
	v_rcp_iflag_f32_e32 v0, v0
	s_ashr_i32 s9, s9, 31
	v_mul_f32_e32 v0, 0x4f7ffffe, v0
	v_cvt_u32_f32_e32 v0, v0
	s_nop 0
	v_readfirstlane_b32 s15, v0
	s_mul_i32 s14, s14, s15
	s_mul_hi_u32 s14, s15, s14
	s_add_i32 s15, s15, s14
	s_mul_hi_u32 s14, s12, s15
	s_mul_i32 s15, s14, s13
	s_sub_i32 s12, s12, s15
	s_add_i32 s16, s14, 1
	s_sub_i32 s15, s12, s13
	s_cmp_ge_u32 s12, s13
	s_cselect_b32 s14, s16, s14
	s_cselect_b32 s12, s15, s12
	s_add_i32 s15, s14, 1
	s_cmp_ge_u32 s12, s13
	s_cselect_b32 s12, s15, s14
	s_xor_b32 s12, s12, s9
	s_add_i32 s8, s8, -1
	s_sub_i32 s12, s12, s9
	s_cmp_lg_u32 s8, 0
	s_cbranch_scc1 .LBB0_11
; %bb.12:                               ;   in Loop: Header=BB0_4 Depth=1
	s_add_i32 s10, s12, s10
	s_add_i32 s11, s11, 1
	v_cmp_ge_i32_e32 vcc, s10, v13
	s_or_b64 s[4:5], vcc, s[4:5]
	v_mov_b32_e32 v6, s11
	v_mov_b32_e32 v4, s10
	s_andn2_b64 exec, exec, s[4:5]
	s_cbranch_execnz .LBB0_4
; %bb.13:
	s_or_b64 exec, exec, s[4:5]
.LBB0_14:
	s_or_b64 exec, exec, s[2:3]
	v_add_u32_e32 v7, -1, v6
	v_mov_b32_e32 v0, 1
	v_cmp_lt_u32_e32 vcc, 1, v6
	s_and_saveexec_b64 s[4:5], vcc
	s_cbranch_execz .LBB0_24
; %bb.15:
	v_cmp_lt_u32_e64 s[2:3], 4, v6
	s_mov_b64 s[10:11], -1
	v_mov_b32_e32 v8, 44
	v_mov_b32_e32 v0, 1
	;; [unrolled: 1-line block ×3, first 2 shown]
	s_and_saveexec_b64 s[8:9], s[2:3]
	s_cbranch_execz .LBB0_19
; %bb.16:
	v_and_b32_e32 v5, -4, v7
	s_mov_b32 s10, 1
	s_mov_b32 s16, 43
	s_mov_b32 s17, 44
	s_mov_b64 s[12:13], 0
	v_mov_b32_e32 v8, v5
	s_mov_b32 s11, s10
	s_mov_b32 s14, s10
	;; [unrolled: 1-line block ×3, first 2 shown]
.LBB0_17:                               ; =>This Inner Loop Header: Depth=1
	s_add_i32 s2, s17, -2
	s_add_i32 s3, s16, -2
	v_add_u32_e32 v8, -4, v8
	s_mul_i32 s11, s11, s16
	s_mul_i32 s10, s10, s17
	s_add_i32 s17, s17, -4
	s_add_i32 s16, s16, -4
	s_mul_i32 s15, s15, s3
	s_mul_i32 s14, s14, s2
	v_cmp_eq_u32_e64 s[2:3], 0, v8
	v_mov_b64_e32 v[0:1], s[10:11]
	s_or_b64 s[12:13], s[2:3], s[12:13]
	v_mov_b64_e32 v[2:3], s[14:15]
	s_andn2_b64 exec, exec, s[12:13]
	s_cbranch_execnz .LBB0_17
; %bb.18:
	s_or_b64 exec, exec, s[12:13]
	v_mul_lo_u32 v1, v3, v1
	v_mul_lo_u32 v0, v2, v0
	v_cmp_ne_u32_e64 s[2:3], v7, v5
	v_sub_u32_e32 v8, 44, v5
	v_mul_lo_u32 v0, v0, v1
	s_orn2_b64 s[10:11], s[2:3], exec
.LBB0_19:
	s_or_b64 exec, exec, s[8:9]
	s_and_saveexec_b64 s[8:9], s[10:11]
	s_cbranch_execz .LBB0_23
; %bb.20:
	v_sub_u32_e32 v1, v7, v5
	s_mov_b64 s[10:11], 0
.LBB0_21:                               ; =>This Inner Loop Header: Depth=1
	v_add_u32_e32 v1, -1, v1
	v_cmp_eq_u32_e64 s[2:3], 0, v1
	v_mul_lo_u32 v0, v0, v8
	s_or_b64 s[10:11], s[2:3], s[10:11]
	v_add_u32_e32 v8, -1, v8
	s_andn2_b64 exec, exec, s[10:11]
	s_cbranch_execnz .LBB0_21
; %bb.22:
	s_or_b64 exec, exec, s[10:11]
.LBB0_23:
	s_or_b64 exec, exec, s[8:9]
.LBB0_24:
	s_or_b64 exec, exec, s[4:5]
	s_and_saveexec_b64 s[2:3], vcc
	s_cbranch_execz .LBB0_28
; %bb.25:
	s_mov_b64 s[4:5], 0
	v_mov_b32_e32 v1, v7
.LBB0_26:                               ; =>This Inner Loop Header: Depth=1
	v_sub_u32_e32 v3, 0, v0
	v_sub_u32_e32 v5, 0, v1
	v_xor_b32_e32 v2, v0, v1
	v_max_i32_e32 v0, v0, v3
	v_max_i32_e32 v3, v1, v5
	v_cvt_f32_u32_e32 v5, v3
	v_sub_u32_e32 v8, 0, v3
	v_add_u32_e32 v1, -1, v1
	v_cmp_eq_u32_e32 vcc, 0, v1
	v_rcp_iflag_f32_e32 v5, v5
	s_or_b64 s[4:5], vcc, s[4:5]
	v_ashrrev_i32_e32 v2, 31, v2
	v_mul_f32_e32 v5, 0x4f7ffffe, v5
	v_cvt_u32_f32_e32 v5, v5
	v_mul_lo_u32 v8, v8, v5
	v_mul_hi_u32 v8, v5, v8
	v_add_u32_e32 v5, v5, v8
	v_mul_hi_u32 v5, v0, v5
	v_mul_lo_u32 v8, v5, v3
	v_sub_u32_e32 v0, v0, v8
	v_add_u32_e32 v9, 1, v5
	v_cmp_ge_u32_e32 vcc, v0, v3
	v_sub_u32_e32 v8, v0, v3
	s_nop 0
	v_cndmask_b32_e32 v5, v5, v9, vcc
	v_cndmask_b32_e32 v0, v0, v8, vcc
	v_add_u32_e32 v8, 1, v5
	v_cmp_ge_u32_e32 vcc, v0, v3
	s_nop 1
	v_cndmask_b32_e32 v0, v5, v8, vcc
	v_xor_b32_e32 v0, v0, v2
	v_sub_u32_e32 v0, v0, v2
	s_andn2_b64 exec, exec, s[4:5]
	s_cbranch_execnz .LBB0_26
; %bb.27:
	s_or_b64 exec, exec, s[4:5]
.LBB0_28:
	s_or_b64 exec, exec, s[2:3]
	v_sub_u32_e32 v1, v13, v4
	v_add_u32_e32 v9, v0, v1
	v_cmp_lt_i32_e32 vcc, 2, v6
	v_mov_b32_e32 v15, 0
	v_mov_b32_e32 v14, 0
	;; [unrolled: 1-line block ×7, first 2 shown]
	s_and_saveexec_b64 s[8:9], vcc
	s_cbranch_execz .LBB0_56
; %bb.29:
	v_add_u32_e32 v8, -2, v6
	v_mov_b32_e32 v0, 44
	s_mov_b32 s20, 0
	s_mov_b64 s[10:11], 0
	v_mov_b32_e32 v16, 0
	v_mov_b32_e32 v10, 0
	;; [unrolled: 1-line block ×7, first 2 shown]
.LBB0_30:                               ; =>This Loop Header: Depth=1
                                        ;     Child Loop BB0_32 Depth 2
                                        ;       Child Loop BB0_34 Depth 3
                                        ;       Child Loop BB0_38 Depth 3
                                        ;       Child Loop BB0_41 Depth 3
                                        ;     Child Loop BB0_46 Depth 2
                                        ;     Child Loop BB0_50 Depth 2
	;; [unrolled: 1-line block ×3, first 2 shown]
	v_subrev_u32_e32 v20, s20, v8
	v_and_b32_e32 v21, -2, v17
	v_cmp_lt_i32_e32 vcc, 0, v9
	v_add_u32_e32 v7, -1, v7
	v_and_b32_e32 v19, -2, v20
	v_mov_b32_e32 v4, 0
	v_mov_b32_e32 v18, 0
	s_and_saveexec_b64 s[12:13], vcc
	s_cbranch_execz .LBB0_44
; %bb.31:                               ;   in Loop: Header=BB0_30 Depth=1
	v_and_b32_e32 v1, -2, v20
	s_mov_b32 s21, 1
	v_cmp_lt_u32_e32 vcc, 1, v20
	v_cmp_ne_u32_e64 s[2:3], v20, v1
	v_mov_b32_e32 v18, 0
	s_mov_b64 s[14:15], 0
.LBB0_32:                               ;   Parent Loop BB0_30 Depth=1
                                        ; =>  This Loop Header: Depth=2
                                        ;       Child Loop BB0_34 Depth 3
                                        ;       Child Loop BB0_38 Depth 3
	;; [unrolled: 1-line block ×3, first 2 shown]
	v_subrev_u32_e32 v2, s21, v0
	s_mov_b64 s[4:5], -1
	v_mov_b32_e32 v3, 1
	v_mov_b32_e32 v4, 0
	s_and_saveexec_b64 s[16:17], vcc
	s_cbranch_execz .LBB0_36
; %bb.33:                               ;   in Loop: Header=BB0_32 Depth=2
	v_add_u32_e32 v3, -1, v2
	v_mov_b32_e32 v22, 1
	s_mov_b64 s[18:19], 0
	v_mov_b32_e32 v23, v21
	v_mov_b64_e32 v[4:5], v[2:3]
	v_mov_b32_e32 v3, 1
.LBB0_34:                               ;   Parent Loop BB0_30 Depth=1
                                        ;     Parent Loop BB0_32 Depth=2
                                        ; =>    This Inner Loop Header: Depth=3
	v_add_u32_e32 v23, -2, v23
	v_cmp_eq_u32_e64 s[4:5], 0, v23
	v_mul_lo_u32 v3, v3, v5
	v_mul_lo_u32 v22, v22, v4
	v_add_u32_e32 v5, -2, v5
	s_or_b64 s[18:19], s[4:5], s[18:19]
	v_add_u32_e32 v4, -2, v4
	s_andn2_b64 exec, exec, s[18:19]
	s_cbranch_execnz .LBB0_34
; %bb.35:                               ;   in Loop: Header=BB0_32 Depth=2
	s_or_b64 exec, exec, s[18:19]
	v_sub_u32_e32 v2, v2, v1
	v_mul_lo_u32 v3, v22, v3
	s_orn2_b64 s[4:5], s[2:3], exec
	v_mov_b32_e32 v4, v1
.LBB0_36:                               ;   in Loop: Header=BB0_32 Depth=2
	s_or_b64 exec, exec, s[16:17]
	s_and_saveexec_b64 s[16:17], s[4:5]
	s_cbranch_execz .LBB0_40
; %bb.37:                               ;   in Loop: Header=BB0_32 Depth=2
	s_mov_b64 s[18:19], 0
.LBB0_38:                               ;   Parent Loop BB0_30 Depth=1
                                        ;     Parent Loop BB0_32 Depth=2
                                        ; =>    This Inner Loop Header: Depth=3
	v_add_u32_e32 v4, 1, v4
	v_cmp_eq_u32_e64 s[4:5], v17, v4
	v_mul_lo_u32 v3, v3, v2
	s_or_b64 s[18:19], s[4:5], s[18:19]
	v_add_u32_e32 v2, -1, v2
	s_andn2_b64 exec, exec, s[18:19]
	s_cbranch_execnz .LBB0_38
; %bb.39:                               ;   in Loop: Header=BB0_32 Depth=2
	s_or_b64 exec, exec, s[18:19]
.LBB0_40:                               ;   in Loop: Header=BB0_32 Depth=2
	s_or_b64 exec, exec, s[16:17]
	s_mov_b64 s[16:17], 0
	v_mov_b32_e32 v2, v7
.LBB0_41:                               ;   Parent Loop BB0_30 Depth=1
                                        ;     Parent Loop BB0_32 Depth=2
                                        ; =>    This Inner Loop Header: Depth=3
	v_sub_u32_e32 v5, 0, v3
	v_sub_u32_e32 v22, 0, v2
	v_xor_b32_e32 v4, v3, v2
	v_max_i32_e32 v3, v3, v5
	v_max_i32_e32 v5, v2, v22
	v_cvt_f32_u32_e32 v22, v5
	v_sub_u32_e32 v23, 0, v5
	v_add_u32_e32 v2, -1, v2
	v_cmp_eq_u32_e64 s[4:5], 0, v2
	v_rcp_iflag_f32_e32 v22, v22
	s_or_b64 s[16:17], s[4:5], s[16:17]
	v_ashrrev_i32_e32 v4, 31, v4
	v_mul_f32_e32 v22, 0x4f7ffffe, v22
	v_cvt_u32_f32_e32 v22, v22
	v_mul_lo_u32 v23, v23, v22
	v_mul_hi_u32 v23, v22, v23
	v_add_u32_e32 v22, v22, v23
	v_mul_hi_u32 v22, v3, v22
	v_mul_lo_u32 v23, v22, v5
	v_sub_u32_e32 v3, v3, v23
	v_add_u32_e32 v24, 1, v22
	v_cmp_ge_u32_e64 s[4:5], v3, v5
	v_sub_u32_e32 v23, v3, v5
	s_nop 0
	v_cndmask_b32_e64 v22, v22, v24, s[4:5]
	v_cndmask_b32_e64 v3, v3, v23, s[4:5]
	v_add_u32_e32 v23, 1, v22
	v_cmp_ge_u32_e64 s[4:5], v3, v5
	s_nop 1
	v_cndmask_b32_e64 v3, v22, v23, s[4:5]
	v_xor_b32_e32 v3, v3, v4
	v_sub_u32_e32 v3, v3, v4
	s_andn2_b64 exec, exec, s[16:17]
	s_cbranch_execnz .LBB0_41
; %bb.42:                               ;   in Loop: Header=BB0_32 Depth=2
	s_or_b64 exec, exec, s[16:17]
	v_add_u32_e32 v18, v3, v18
	s_add_i32 s16, s21, 1
	v_cmp_ge_i32_e64 s[4:5], v18, v9
	s_or_b64 s[14:15], s[4:5], s[14:15]
	v_mov_b32_e32 v4, s21
	s_mov_b32 s21, s16
	s_andn2_b64 exec, exec, s[14:15]
	s_cbranch_execnz .LBB0_32
; %bb.43:                               ;   in Loop: Header=BB0_30 Depth=1
	s_or_b64 exec, exec, s[14:15]
.LBB0_44:                               ;   in Loop: Header=BB0_30 Depth=1
	s_or_b64 exec, exec, s[12:13]
	v_sub_u32_e32 v0, v0, v4
	v_mov_b32_e32 v1, 1
	v_cmp_lt_u32_e32 vcc, 1, v20
	s_mov_b64 s[4:5], -1
	v_mov_b32_e32 v3, 0
	v_mov_b32_e32 v2, v0
	s_and_saveexec_b64 s[2:3], vcc
	s_cbranch_execz .LBB0_48
; %bb.45:                               ;   in Loop: Header=BB0_30 Depth=1
	v_add_u32_e32 v1, -1, v0
	v_mov_b32_e32 v5, 1
	s_mov_b64 s[4:5], 0
	v_mov_b64_e32 v[2:3], v[0:1]
	v_mov_b32_e32 v1, 1
.LBB0_46:                               ;   Parent Loop BB0_30 Depth=1
                                        ; =>  This Inner Loop Header: Depth=2
	v_add_u32_e32 v21, -2, v21
	v_cmp_eq_u32_e32 vcc, 0, v21
	v_mul_lo_u32 v1, v1, v3
	v_mul_lo_u32 v5, v5, v2
	v_add_u32_e32 v3, -2, v3
	s_or_b64 s[4:5], vcc, s[4:5]
	v_add_u32_e32 v2, -2, v2
	s_andn2_b64 exec, exec, s[4:5]
	s_cbranch_execnz .LBB0_46
; %bb.47:                               ;   in Loop: Header=BB0_30 Depth=1
	s_or_b64 exec, exec, s[4:5]
	v_cmp_ne_u32_e32 vcc, v20, v19
	v_sub_u32_e32 v2, v0, v19
	v_mul_lo_u32 v1, v5, v1
	s_orn2_b64 s[4:5], vcc, exec
	v_mov_b32_e32 v3, v19
.LBB0_48:                               ;   in Loop: Header=BB0_30 Depth=1
	s_or_b64 exec, exec, s[2:3]
	s_and_saveexec_b64 s[2:3], s[4:5]
	s_cbranch_execz .LBB0_52
; %bb.49:                               ;   in Loop: Header=BB0_30 Depth=1
	s_mov_b64 s[4:5], 0
.LBB0_50:                               ;   Parent Loop BB0_30 Depth=1
                                        ; =>  This Inner Loop Header: Depth=2
	v_add_u32_e32 v3, 1, v3
	v_cmp_eq_u32_e32 vcc, v17, v3
	v_mul_lo_u32 v1, v1, v2
	s_or_b64 s[4:5], vcc, s[4:5]
	v_add_u32_e32 v2, -1, v2
	s_andn2_b64 exec, exec, s[4:5]
	s_cbranch_execnz .LBB0_50
; %bb.51:                               ;   in Loop: Header=BB0_30 Depth=1
	s_or_b64 exec, exec, s[4:5]
.LBB0_52:                               ;   in Loop: Header=BB0_30 Depth=1
	s_or_b64 exec, exec, s[2:3]
	s_mov_b64 s[2:3], 0
	v_mov_b32_e32 v2, v7
.LBB0_53:                               ;   Parent Loop BB0_30 Depth=1
                                        ; =>  This Inner Loop Header: Depth=2
	v_sub_u32_e32 v5, 0, v1
	v_sub_u32_e32 v19, 0, v2
	v_xor_b32_e32 v3, v1, v2
	v_max_i32_e32 v1, v1, v5
	v_max_i32_e32 v5, v2, v19
	v_cvt_f32_u32_e32 v19, v5
	v_sub_u32_e32 v20, 0, v5
	v_add_u32_e32 v2, -1, v2
	v_cmp_eq_u32_e32 vcc, 0, v2
	v_rcp_iflag_f32_e32 v19, v19
	s_or_b64 s[2:3], vcc, s[2:3]
	v_ashrrev_i32_e32 v3, 31, v3
	v_mul_f32_e32 v19, 0x4f7ffffe, v19
	v_cvt_u32_f32_e32 v19, v19
	v_mul_lo_u32 v20, v20, v19
	v_mul_hi_u32 v20, v19, v20
	v_add_u32_e32 v19, v19, v20
	v_mul_hi_u32 v19, v1, v19
	v_mul_lo_u32 v20, v19, v5
	v_sub_u32_e32 v1, v1, v20
	v_add_u32_e32 v21, 1, v19
	v_cmp_ge_u32_e32 vcc, v1, v5
	v_sub_u32_e32 v20, v1, v5
	s_nop 0
	v_cndmask_b32_e32 v19, v19, v21, vcc
	v_cndmask_b32_e32 v1, v1, v20, vcc
	v_add_u32_e32 v20, 1, v19
	v_cmp_ge_u32_e32 vcc, v1, v5
	s_nop 1
	v_cndmask_b32_e32 v1, v19, v20, vcc
	v_xor_b32_e32 v1, v1, v3
	v_sub_u32_e32 v1, v1, v3
	s_andn2_b64 exec, exec, s[2:3]
	s_cbranch_execnz .LBB0_53
; %bb.54:                               ;   in Loop: Header=BB0_30 Depth=1
	s_or_b64 exec, exec, s[2:3]
	s_add_i32 s2, s20, 1
	s_cmp_eq_u32 s20, 0
	v_add_u32_e32 v16, v4, v16
	s_cselect_b64 vcc, -1, 0
	s_cmp_eq_u32 s20, 1
	v_cndmask_b32_e32 v10, v10, v16, vcc
	s_cselect_b64 vcc, -1, 0
	s_cmp_eq_u32 s20, 2
	v_cndmask_b32_e32 v11, v11, v16, vcc
	;; [unrolled: 3-line block ×4, first 2 shown]
	s_cselect_b64 vcc, -1, 0
	v_sub_u32_e32 v2, v9, v18
	v_cndmask_b32_e32 v15, v15, v16, vcc
	v_cmp_eq_u32_e32 vcc, s2, v8
	v_add_u32_e32 v9, v1, v2
	v_add_u32_e32 v17, -1, v17
	s_or_b64 s[10:11], vcc, s[10:11]
	s_mov_b32 s20, s2
	s_andn2_b64 exec, exec, s[10:11]
	s_cbranch_execnz .LBB0_30
; %bb.55:
	s_or_b64 exec, exec, s[10:11]
.LBB0_56:
	s_or_b64 exec, exec, s[8:9]
	v_add_u32_e32 v0, v16, v9
	v_cmp_eq_u32_e32 vcc, 4, v8
	s_nop 1
	v_cndmask_b32_e32 v4, v15, v0, vcc
	v_cmp_eq_u32_e32 vcc, 3, v8
	s_nop 1
	v_cndmask_b32_e32 v3, v14, v0, vcc
	v_cmp_eq_u32_e32 vcc, 2, v8
	s_nop 1
	v_cndmask_b32_e32 v2, v12, v0, vcc
	v_cmp_eq_u32_e32 vcc, 1, v8
	s_nop 1
	v_cndmask_b32_e32 v1, v11, v0, vcc
	v_cmp_eq_u32_e32 vcc, 0, v8
	s_nop 1
	v_cndmask_b32_e32 v0, v10, v0, vcc
	v_cmp_gt_u32_e32 vcc, 3, v8
	s_and_saveexec_b64 s[2:3], vcc
	s_cbranch_execz .LBB0_60
; %bb.57:
	v_max_i32_e32 v6, 2, v6
	v_add_u32_e32 v5, -3, v6
	v_add_u32_e32 v6, -1, v6
	v_mov_b32_e32 v7, 0
	s_mov_b64 s[4:5], 0
.LBB0_58:                               ; =>This Inner Loop Header: Depth=1
	v_cmp_ne_u32_e32 vcc, 4, v6
	v_add_u32_e32 v5, 1, v5
	s_nop 0
	v_cndmask_b32_e32 v4, -1, v4, vcc
	v_cmp_ne_u32_e32 vcc, 3, v6
	s_nop 1
	v_cndmask_b32_e32 v3, -1, v3, vcc
	v_cmp_ne_u32_e32 vcc, 2, v6
	;; [unrolled: 3-line block ×4, first 2 shown]
	v_lshl_add_u64 v[6:7], v[6:7], 0, 1
	s_nop 0
	v_cndmask_b32_e32 v0, -1, v0, vcc
	v_cmp_lt_u32_e32 vcc, 1, v5
	s_or_b64 s[4:5], vcc, s[4:5]
	s_andn2_b64 exec, exec, s[4:5]
	s_cbranch_execnz .LBB0_58
; %bb.59:
	s_or_b64 exec, exec, s[4:5]
.LBB0_60:
	s_or_b64 exec, exec, s[2:3]
.LBB0_61:
	s_or_b64 exec, exec, s[6:7]
	v_cmp_lt_i32_e32 vcc, 0, v2
	s_load_dwordx4 s[12:15], s[0:1], 0x8
	s_load_dwordx2 s[10:11], s[0:1], 0x18
	v_cmp_lt_i32_e64 s[0:1], 0, v0
	v_cndmask_b32_e64 v6, 0, 1, vcc
	v_cmp_lt_i32_e32 vcc, 0, v3
	v_cmp_lt_i32_e64 s[2:3], 0, v1
	v_cndmask_b32_e64 v5, 0, 1, s[0:1]
	v_cndmask_b32_e64 v7, 0, 1, vcc
	v_addc_co_u32_e64 v6, s[2:3], 0, v6, s[2:3]
	v_addc_co_u32_e32 v5, vcc, v6, v5, vcc
	v_addc_co_u32_e64 v18, s[0:1], v6, v7, s[0:1]
	v_mov_b32_e32 v6, 0
	v_mov_b32_e32 v8, v6
	;; [unrolled: 1-line block ×6, first 2 shown]
	s_or_b32 s48, 0, 8
	s_or_b32 s49, 0, 4
	s_mov_b32 s17, 0
	v_cmp_ne_u32_e32 vcc, 0, v5
	v_mov_b32_e32 v19, 6
	v_mov_b32_e32 v20, 7
	;; [unrolled: 1-line block ×28, first 2 shown]
	s_mov_b32 s50, 0
	v_mov_b32_e32 v47, 34
	v_mov_b32_e32 v48, 35
	;; [unrolled: 1-line block ×16, first 2 shown]
	s_branch .LBB0_63
.LBB0_62:                               ;   in Loop: Header=BB0_63 Depth=1
	s_or_b64 exec, exec, s[18:19]
	s_add_i32 s50, s50, 1
	s_cmp_lg_u32 s50, 45
	s_cbranch_scc0 .LBB0_215
.LBB0_63:                               ; =>This Loop Header: Depth=1
                                        ;     Child Loop BB0_155 Depth 2
                                        ;     Child Loop BB0_160 Depth 2
                                        ;       Child Loop BB0_162 Depth 3
                                        ;       Child Loop BB0_176 Depth 3
	;; [unrolled: 1-line block ×3, first 2 shown]
                                        ;         Child Loop BB0_199 Depth 4
                                        ;         Child Loop BB0_205 Depth 4
	;; [unrolled: 1-line block ×3, first 2 shown]
	s_cmp_eq_u32 s50, 0
	s_mov_b32 s1, s49
	s_mov_b32 s0, 1
	s_cbranch_scc1 .LBB0_65
; %bb.64:                               ;   in Loop: Header=BB0_63 Depth=1
	s_mov_b32 s0, 2
	s_mov_b32 s1, s48
	scratch_store_dword off, v6, off offset:4
.LBB0_65:                               ;   in Loop: Header=BB0_63 Depth=1
	s_cmp_eq_u32 s50, 1
	s_cbranch_scc0 .LBB0_110
; %bb.66:                               ;   in Loop: Header=BB0_63 Depth=1
	s_cmp_eq_u32 s50, 2
	s_cbranch_scc0 .LBB0_111
.LBB0_67:                               ;   in Loop: Header=BB0_63 Depth=1
	s_cmp_eq_u32 s50, 3
	s_cbranch_scc0 .LBB0_112
.LBB0_68:                               ;   in Loop: Header=BB0_63 Depth=1
	s_cmp_eq_u32 s50, 4
	s_cbranch_scc0 .LBB0_113
.LBB0_69:                               ;   in Loop: Header=BB0_63 Depth=1
	s_cmp_eq_u32 s50, 5
	s_cbranch_scc0 .LBB0_114
.LBB0_70:                               ;   in Loop: Header=BB0_63 Depth=1
	s_cmp_eq_u32 s50, 6
	s_cbranch_scc0 .LBB0_115
.LBB0_71:                               ;   in Loop: Header=BB0_63 Depth=1
	s_cmp_eq_u32 s50, 7
	s_cbranch_scc0 .LBB0_116
.LBB0_72:                               ;   in Loop: Header=BB0_63 Depth=1
	s_cmp_eq_u32 s50, 8
	s_cbranch_scc0 .LBB0_117
.LBB0_73:                               ;   in Loop: Header=BB0_63 Depth=1
	s_cmp_eq_u32 s50, 9
	s_cbranch_scc0 .LBB0_118
.LBB0_74:                               ;   in Loop: Header=BB0_63 Depth=1
	s_cmp_eq_u32 s50, 10
	s_cbranch_scc0 .LBB0_119
.LBB0_75:                               ;   in Loop: Header=BB0_63 Depth=1
	s_cmp_eq_u32 s50, 11
	s_cbranch_scc0 .LBB0_120
.LBB0_76:                               ;   in Loop: Header=BB0_63 Depth=1
	s_cmp_eq_u32 s50, 12
	s_cbranch_scc0 .LBB0_121
.LBB0_77:                               ;   in Loop: Header=BB0_63 Depth=1
	s_cmp_eq_u32 s50, 13
	s_cbranch_scc0 .LBB0_122
.LBB0_78:                               ;   in Loop: Header=BB0_63 Depth=1
	s_cmp_eq_u32 s50, 14
	s_cbranch_scc0 .LBB0_123
.LBB0_79:                               ;   in Loop: Header=BB0_63 Depth=1
	s_cmp_eq_u32 s50, 15
	s_cbranch_scc0 .LBB0_124
.LBB0_80:                               ;   in Loop: Header=BB0_63 Depth=1
	s_cmp_eq_u32 s50, 16
	s_cbranch_scc0 .LBB0_125
.LBB0_81:                               ;   in Loop: Header=BB0_63 Depth=1
	s_cmp_eq_u32 s50, 17
	s_cbranch_scc0 .LBB0_126
.LBB0_82:                               ;   in Loop: Header=BB0_63 Depth=1
	s_cmp_eq_u32 s50, 18
	s_cbranch_scc0 .LBB0_127
.LBB0_83:                               ;   in Loop: Header=BB0_63 Depth=1
	s_cmp_eq_u32 s50, 19
	s_cbranch_scc0 .LBB0_128
.LBB0_84:                               ;   in Loop: Header=BB0_63 Depth=1
	s_cmp_eq_u32 s50, 20
	s_cbranch_scc0 .LBB0_129
.LBB0_85:                               ;   in Loop: Header=BB0_63 Depth=1
	s_cmp_eq_u32 s50, 21
	s_cbranch_scc0 .LBB0_130
.LBB0_86:                               ;   in Loop: Header=BB0_63 Depth=1
	s_cmp_eq_u32 s50, 22
	s_cbranch_scc0 .LBB0_131
.LBB0_87:                               ;   in Loop: Header=BB0_63 Depth=1
	s_cmp_eq_u32 s50, 23
	s_cbranch_scc0 .LBB0_132
.LBB0_88:                               ;   in Loop: Header=BB0_63 Depth=1
	s_cmp_eq_u32 s50, 24
	s_cbranch_scc0 .LBB0_133
.LBB0_89:                               ;   in Loop: Header=BB0_63 Depth=1
	s_cmp_eq_u32 s50, 25
	s_cbranch_scc0 .LBB0_134
.LBB0_90:                               ;   in Loop: Header=BB0_63 Depth=1
	s_cmp_eq_u32 s50, 26
	s_cbranch_scc0 .LBB0_135
.LBB0_91:                               ;   in Loop: Header=BB0_63 Depth=1
	s_cmp_eq_u32 s50, 27
	s_cbranch_scc0 .LBB0_136
.LBB0_92:                               ;   in Loop: Header=BB0_63 Depth=1
	s_cmp_eq_u32 s50, 28
	s_cbranch_scc0 .LBB0_137
.LBB0_93:                               ;   in Loop: Header=BB0_63 Depth=1
	s_cmp_eq_u32 s50, 29
	s_cbranch_scc0 .LBB0_138
.LBB0_94:                               ;   in Loop: Header=BB0_63 Depth=1
	s_cmp_eq_u32 s50, 30
	s_cbranch_scc0 .LBB0_139
.LBB0_95:                               ;   in Loop: Header=BB0_63 Depth=1
	s_cmp_eq_u32 s50, 31
	s_cbranch_scc0 .LBB0_140
.LBB0_96:                               ;   in Loop: Header=BB0_63 Depth=1
	s_cmp_eq_u32 s50, 32
	s_cbranch_scc0 .LBB0_141
.LBB0_97:                               ;   in Loop: Header=BB0_63 Depth=1
	s_cmp_eq_u32 s50, 33
	s_cbranch_scc0 .LBB0_142
.LBB0_98:                               ;   in Loop: Header=BB0_63 Depth=1
	s_cmp_eq_u32 s50, 34
	s_cbranch_scc0 .LBB0_143
.LBB0_99:                               ;   in Loop: Header=BB0_63 Depth=1
	s_cmp_eq_u32 s50, 35
	s_cbranch_scc0 .LBB0_144
.LBB0_100:                              ;   in Loop: Header=BB0_63 Depth=1
	s_cmp_eq_u32 s50, 36
	s_cbranch_scc0 .LBB0_145
.LBB0_101:                              ;   in Loop: Header=BB0_63 Depth=1
	s_cmp_eq_u32 s50, 37
	s_cbranch_scc0 .LBB0_146
.LBB0_102:                              ;   in Loop: Header=BB0_63 Depth=1
	s_cmp_eq_u32 s50, 38
	s_cbranch_scc0 .LBB0_147
.LBB0_103:                              ;   in Loop: Header=BB0_63 Depth=1
	s_cmp_eq_u32 s50, 39
	s_cbranch_scc0 .LBB0_148
.LBB0_104:                              ;   in Loop: Header=BB0_63 Depth=1
	s_cmp_eq_u32 s50, 40
	s_cbranch_scc0 .LBB0_149
.LBB0_105:                              ;   in Loop: Header=BB0_63 Depth=1
	s_cmp_eq_u32 s50, 41
	s_cbranch_scc0 .LBB0_150
.LBB0_106:                              ;   in Loop: Header=BB0_63 Depth=1
	s_cmp_eq_u32 s50, 42
	s_cbranch_scc0 .LBB0_151
.LBB0_107:                              ;   in Loop: Header=BB0_63 Depth=1
	s_cmp_eq_u32 s50, 43
	s_cbranch_scc0 .LBB0_152
.LBB0_108:                              ;   in Loop: Header=BB0_63 Depth=1
	s_cmp_eq_u32 s50, 44
	s_cbranch_scc0 .LBB0_153
.LBB0_109:                              ;   in Loop: Header=BB0_63 Depth=1
	s_and_saveexec_b64 s[4:5], vcc
	s_cbranch_execnz .LBB0_154
	s_branch .LBB0_157
.LBB0_110:                              ;   in Loop: Header=BB0_63 Depth=1
	s_add_i32 s0, s0, 1
	v_mov_b32_e32 v7, 1
	scratch_store_dword off, v7, s1
	s_cmp_eq_u32 s50, 2
	s_cbranch_scc1 .LBB0_67
.LBB0_111:                              ;   in Loop: Header=BB0_63 Depth=1
	s_lshl_b32 s1, s0, 2
	s_add_i32 s0, s0, 1
	v_mov_b32_e32 v7, 2
	scratch_store_dword off, v7, s1
	s_cmp_eq_u32 s50, 3
	s_cbranch_scc1 .LBB0_68
.LBB0_112:                              ;   in Loop: Header=BB0_63 Depth=1
	s_lshl_b32 s1, s0, 2
	s_add_i32 s0, s0, 1
	v_mov_b32_e32 v7, 3
	scratch_store_dword off, v7, s1
	s_cmp_eq_u32 s50, 4
	s_cbranch_scc1 .LBB0_69
.LBB0_113:                              ;   in Loop: Header=BB0_63 Depth=1
	s_lshl_b32 s1, s0, 2
	s_add_i32 s0, s0, 1
	v_mov_b32_e32 v7, 4
	scratch_store_dword off, v7, s1
	s_cmp_eq_u32 s50, 5
	s_cbranch_scc1 .LBB0_70
.LBB0_114:                              ;   in Loop: Header=BB0_63 Depth=1
	s_lshl_b32 s1, s0, 2
	s_add_i32 s0, s0, 1
	v_mov_b32_e32 v7, 5
	scratch_store_dword off, v7, s1
	s_cmp_eq_u32 s50, 6
	s_cbranch_scc1 .LBB0_71
.LBB0_115:                              ;   in Loop: Header=BB0_63 Depth=1
	s_lshl_b32 s1, s0, 2
	s_add_i32 s0, s0, 1
	scratch_store_dword off, v19, s1
	s_cmp_eq_u32 s50, 7
	s_cbranch_scc1 .LBB0_72
.LBB0_116:                              ;   in Loop: Header=BB0_63 Depth=1
	s_lshl_b32 s1, s0, 2
	s_add_i32 s0, s0, 1
	scratch_store_dword off, v20, s1
	s_cmp_eq_u32 s50, 8
	s_cbranch_scc1 .LBB0_73
.LBB0_117:                              ;   in Loop: Header=BB0_63 Depth=1
	s_lshl_b32 s1, s0, 2
	s_add_i32 s0, s0, 1
	scratch_store_dword off, v21, s1
	s_cmp_eq_u32 s50, 9
	s_cbranch_scc1 .LBB0_74
.LBB0_118:                              ;   in Loop: Header=BB0_63 Depth=1
	s_lshl_b32 s1, s0, 2
	s_add_i32 s0, s0, 1
	scratch_store_dword off, v22, s1
	s_cmp_eq_u32 s50, 10
	s_cbranch_scc1 .LBB0_75
.LBB0_119:                              ;   in Loop: Header=BB0_63 Depth=1
	s_lshl_b32 s1, s0, 2
	s_add_i32 s0, s0, 1
	scratch_store_dword off, v23, s1
	s_cmp_eq_u32 s50, 11
	s_cbranch_scc1 .LBB0_76
.LBB0_120:                              ;   in Loop: Header=BB0_63 Depth=1
	s_lshl_b32 s1, s0, 2
	s_add_i32 s0, s0, 1
	scratch_store_dword off, v24, s1
	s_cmp_eq_u32 s50, 12
	s_cbranch_scc1 .LBB0_77
.LBB0_121:                              ;   in Loop: Header=BB0_63 Depth=1
	s_lshl_b32 s1, s0, 2
	s_add_i32 s0, s0, 1
	scratch_store_dword off, v25, s1
	s_cmp_eq_u32 s50, 13
	s_cbranch_scc1 .LBB0_78
.LBB0_122:                              ;   in Loop: Header=BB0_63 Depth=1
	s_lshl_b32 s1, s0, 2
	s_add_i32 s0, s0, 1
	scratch_store_dword off, v26, s1
	s_cmp_eq_u32 s50, 14
	s_cbranch_scc1 .LBB0_79
.LBB0_123:                              ;   in Loop: Header=BB0_63 Depth=1
	s_lshl_b32 s1, s0, 2
	s_add_i32 s0, s0, 1
	scratch_store_dword off, v27, s1
	s_cmp_eq_u32 s50, 15
	s_cbranch_scc1 .LBB0_80
.LBB0_124:                              ;   in Loop: Header=BB0_63 Depth=1
	s_lshl_b32 s1, s0, 2
	s_add_i32 s0, s0, 1
	scratch_store_dword off, v28, s1
	s_cmp_eq_u32 s50, 16
	s_cbranch_scc1 .LBB0_81
.LBB0_125:                              ;   in Loop: Header=BB0_63 Depth=1
	s_lshl_b32 s1, s0, 2
	s_add_i32 s0, s0, 1
	scratch_store_dword off, v29, s1
	s_cmp_eq_u32 s50, 17
	s_cbranch_scc1 .LBB0_82
.LBB0_126:                              ;   in Loop: Header=BB0_63 Depth=1
	s_lshl_b32 s1, s0, 2
	s_add_i32 s0, s0, 1
	scratch_store_dword off, v30, s1
	s_cmp_eq_u32 s50, 18
	s_cbranch_scc1 .LBB0_83
.LBB0_127:                              ;   in Loop: Header=BB0_63 Depth=1
	s_lshl_b32 s1, s0, 2
	s_add_i32 s0, s0, 1
	scratch_store_dword off, v31, s1
	s_cmp_eq_u32 s50, 19
	s_cbranch_scc1 .LBB0_84
.LBB0_128:                              ;   in Loop: Header=BB0_63 Depth=1
	s_lshl_b32 s1, s0, 2
	s_add_i32 s0, s0, 1
	scratch_store_dword off, v32, s1
	s_cmp_eq_u32 s50, 20
	s_cbranch_scc1 .LBB0_85
.LBB0_129:                              ;   in Loop: Header=BB0_63 Depth=1
	s_lshl_b32 s1, s0, 2
	s_add_i32 s0, s0, 1
	scratch_store_dword off, v33, s1
	s_cmp_eq_u32 s50, 21
	s_cbranch_scc1 .LBB0_86
.LBB0_130:                              ;   in Loop: Header=BB0_63 Depth=1
	s_lshl_b32 s1, s0, 2
	s_add_i32 s0, s0, 1
	scratch_store_dword off, v34, s1
	s_cmp_eq_u32 s50, 22
	s_cbranch_scc1 .LBB0_87
.LBB0_131:                              ;   in Loop: Header=BB0_63 Depth=1
	s_lshl_b32 s1, s0, 2
	s_add_i32 s0, s0, 1
	scratch_store_dword off, v35, s1
	s_cmp_eq_u32 s50, 23
	s_cbranch_scc1 .LBB0_88
.LBB0_132:                              ;   in Loop: Header=BB0_63 Depth=1
	s_lshl_b32 s1, s0, 2
	s_add_i32 s0, s0, 1
	scratch_store_dword off, v36, s1
	s_cmp_eq_u32 s50, 24
	s_cbranch_scc1 .LBB0_89
.LBB0_133:                              ;   in Loop: Header=BB0_63 Depth=1
	s_lshl_b32 s1, s0, 2
	s_add_i32 s0, s0, 1
	scratch_store_dword off, v37, s1
	s_cmp_eq_u32 s50, 25
	s_cbranch_scc1 .LBB0_90
.LBB0_134:                              ;   in Loop: Header=BB0_63 Depth=1
	s_lshl_b32 s1, s0, 2
	s_add_i32 s0, s0, 1
	scratch_store_dword off, v38, s1
	s_cmp_eq_u32 s50, 26
	s_cbranch_scc1 .LBB0_91
.LBB0_135:                              ;   in Loop: Header=BB0_63 Depth=1
	s_lshl_b32 s1, s0, 2
	s_add_i32 s0, s0, 1
	scratch_store_dword off, v39, s1
	s_cmp_eq_u32 s50, 27
	s_cbranch_scc1 .LBB0_92
.LBB0_136:                              ;   in Loop: Header=BB0_63 Depth=1
	s_lshl_b32 s1, s0, 2
	s_add_i32 s0, s0, 1
	scratch_store_dword off, v40, s1
	s_cmp_eq_u32 s50, 28
	s_cbranch_scc1 .LBB0_93
.LBB0_137:                              ;   in Loop: Header=BB0_63 Depth=1
	s_lshl_b32 s1, s0, 2
	s_add_i32 s0, s0, 1
	scratch_store_dword off, v41, s1
	s_cmp_eq_u32 s50, 29
	s_cbranch_scc1 .LBB0_94
.LBB0_138:                              ;   in Loop: Header=BB0_63 Depth=1
	s_lshl_b32 s1, s0, 2
	s_add_i32 s0, s0, 1
	scratch_store_dword off, v42, s1
	s_cmp_eq_u32 s50, 30
	s_cbranch_scc1 .LBB0_95
.LBB0_139:                              ;   in Loop: Header=BB0_63 Depth=1
	s_lshl_b32 s1, s0, 2
	s_add_i32 s0, s0, 1
	scratch_store_dword off, v43, s1
	s_cmp_eq_u32 s50, 31
	s_cbranch_scc1 .LBB0_96
.LBB0_140:                              ;   in Loop: Header=BB0_63 Depth=1
	s_lshl_b32 s1, s0, 2
	s_add_i32 s0, s0, 1
	scratch_store_dword off, v44, s1
	s_cmp_eq_u32 s50, 32
	s_cbranch_scc1 .LBB0_97
.LBB0_141:                              ;   in Loop: Header=BB0_63 Depth=1
	s_lshl_b32 s1, s0, 2
	s_add_i32 s0, s0, 1
	scratch_store_dword off, v45, s1
	s_cmp_eq_u32 s50, 33
	s_cbranch_scc1 .LBB0_98
.LBB0_142:                              ;   in Loop: Header=BB0_63 Depth=1
	s_lshl_b32 s1, s0, 2
	s_add_i32 s0, s0, 1
	scratch_store_dword off, v46, s1
	s_cmp_eq_u32 s50, 34
	s_cbranch_scc1 .LBB0_99
.LBB0_143:                              ;   in Loop: Header=BB0_63 Depth=1
	s_lshl_b32 s1, s0, 2
	s_add_i32 s0, s0, 1
	scratch_store_dword off, v47, s1
	s_cmp_eq_u32 s50, 35
	s_cbranch_scc1 .LBB0_100
.LBB0_144:                              ;   in Loop: Header=BB0_63 Depth=1
	s_lshl_b32 s1, s0, 2
	s_add_i32 s0, s0, 1
	scratch_store_dword off, v48, s1
	s_cmp_eq_u32 s50, 36
	s_cbranch_scc1 .LBB0_101
.LBB0_145:                              ;   in Loop: Header=BB0_63 Depth=1
	s_lshl_b32 s1, s0, 2
	s_add_i32 s0, s0, 1
	scratch_store_dword off, v49, s1
	s_cmp_eq_u32 s50, 37
	s_cbranch_scc1 .LBB0_102
.LBB0_146:                              ;   in Loop: Header=BB0_63 Depth=1
	s_lshl_b32 s1, s0, 2
	s_add_i32 s0, s0, 1
	scratch_store_dword off, v50, s1
	s_cmp_eq_u32 s50, 38
	s_cbranch_scc1 .LBB0_103
.LBB0_147:                              ;   in Loop: Header=BB0_63 Depth=1
	s_lshl_b32 s1, s0, 2
	s_add_i32 s0, s0, 1
	scratch_store_dword off, v51, s1
	s_cmp_eq_u32 s50, 39
	s_cbranch_scc1 .LBB0_104
.LBB0_148:                              ;   in Loop: Header=BB0_63 Depth=1
	s_lshl_b32 s1, s0, 2
	s_add_i32 s0, s0, 1
	scratch_store_dword off, v52, s1
	s_cmp_eq_u32 s50, 40
	s_cbranch_scc1 .LBB0_105
.LBB0_149:                              ;   in Loop: Header=BB0_63 Depth=1
	s_lshl_b32 s1, s0, 2
	s_add_i32 s0, s0, 1
	scratch_store_dword off, v53, s1
	s_cmp_eq_u32 s50, 41
	s_cbranch_scc1 .LBB0_106
.LBB0_150:                              ;   in Loop: Header=BB0_63 Depth=1
	s_lshl_b32 s1, s0, 2
	s_add_i32 s0, s0, 1
	scratch_store_dword off, v54, s1
	s_cmp_eq_u32 s50, 42
	s_cbranch_scc1 .LBB0_107
.LBB0_151:                              ;   in Loop: Header=BB0_63 Depth=1
	s_lshl_b32 s1, s0, 2
	s_add_i32 s0, s0, 1
	scratch_store_dword off, v55, s1
	s_cmp_eq_u32 s50, 43
	s_cbranch_scc1 .LBB0_108
.LBB0_152:                              ;   in Loop: Header=BB0_63 Depth=1
	s_lshl_b32 s1, s0, 2
	s_add_i32 s0, s0, 1
	scratch_store_dword off, v56, s1
	s_cmp_eq_u32 s50, 44
	s_cbranch_scc1 .LBB0_109
.LBB0_153:                              ;   in Loop: Header=BB0_63 Depth=1
	s_lshl_b32 s0, s0, 2
	scratch_store_dword off, v57, s0
	s_and_saveexec_b64 s[4:5], vcc
	s_cbranch_execz .LBB0_157
.LBB0_154:                              ;   in Loop: Header=BB0_63 Depth=1
	s_mov_b64 s[6:7], 0
	s_mov_b64 s[8:9], 0
.LBB0_155:                              ;   Parent Loop BB0_63 Depth=1
                                        ; =>  This Inner Loop Header: Depth=2
	s_cmp_lg_u32 s8, 4
	s_cselect_b64 s[0:1], -1, 0
	s_cmp_lg_u32 s8, 3
	v_cndmask_b32_e64 v12, 0, v12, s[0:1]
	s_cselect_b64 s[0:1], -1, 0
	s_cmp_lg_u32 s8, 2
	v_cndmask_b32_e64 v11, 0, v11, s[0:1]
	s_cselect_b64 s[0:1], -1, 0
	s_cmp_lg_u32 s8, 1
	v_cndmask_b32_e64 v10, 0, v10, s[0:1]
	s_cselect_b64 s[0:1], -1, 0
	s_cmp_lg_u32 s8, 0
	v_cndmask_b32_e64 v9, 0, v9, s[0:1]
	s_cselect_b64 s[0:1], -1, 0
	s_add_u32 s8, s8, 1
	s_addc_u32 s9, s9, 0
	v_cmp_eq_u32_e64 s[2:3], s8, v18
	s_or_b64 s[6:7], s[2:3], s[6:7]
	v_cndmask_b32_e64 v8, 0, v8, s[0:1]
	s_andn2_b64 exec, exec, s[6:7]
	s_cbranch_execnz .LBB0_155
; %bb.156:                              ;   in Loop: Header=BB0_63 Depth=1
	s_or_b64 exec, exec, s[6:7]
.LBB0_157:                              ;   in Loop: Header=BB0_63 Depth=1
	s_or_b64 exec, exec, s[4:5]
	s_mul_i32 s0, s50, s33
	v_add_u32_e32 v14, s0, v13
	v_ashrrev_i32_e32 v15, 31, v14
	s_waitcnt lgkmcnt(0)
	v_lshl_add_u64 v[14:15], v[14:15], 2, s[12:13]
	s_mov_b32 s51, 0
	s_mov_b64 s[18:19], 0
	s_branch .LBB0_160
.LBB0_158:                              ;   in Loop: Header=BB0_160 Depth=2
	v_ashrrev_i32_e32 v61, 31, v16
	v_mov_b32_e32 v60, v16
	v_lshlrev_b64 v[60:61], 2, v[60:61]
	v_ashrrev_i32_e32 v65, 31, v17
	v_mov_b32_e32 v64, v17
	v_lshl_add_u64 v[62:63], s[10:11], 0, v[60:61]
	v_lshl_add_u64 v[16:17], v[64:65], 2, s[10:11]
	;; [unrolled: 1-line block ×3, first 2 shown]
	global_load_dword v7, v[62:63], off
	global_load_dword v59, v[16:17], off
                                        ; kill: killed $vgpr16_vgpr17
                                        ; kill: killed $vgpr62_vgpr63
	s_nop 0
	global_load_dword v16, v[60:61], off offset:4
	global_load_dword v17, v6, s[10:11] offset:4
	global_load_dword v62, v[14:15], off
	s_add_i32 s51, s51, 1
	s_xor_b64 s[2:3], exec, -1
	s_waitcnt vmcnt(4)
	v_add_f32_e32 v7, 0, v7
	s_waitcnt vmcnt(3)
	v_add_f32_e32 v7, v7, v59
	s_waitcnt vmcnt(2)
	v_sub_f32_e32 v7, v7, v16
	s_waitcnt vmcnt(1)
	v_add_f32_e32 v7, v7, v17
	s_waitcnt vmcnt(0)
	v_add_f32_e32 v7, v62, v7
	global_store_dword v[14:15], v7, off
.LBB0_159:                              ;   in Loop: Header=BB0_160 Depth=2
	s_or_b64 exec, exec, s[8:9]
	s_and_b64 s[0:1], exec, s[2:3]
	s_or_b64 s[18:19], s[0:1], s[18:19]
	s_andn2_b64 exec, exec, s[18:19]
	s_cbranch_execz .LBB0_62
.LBB0_160:                              ;   Parent Loop BB0_63 Depth=1
                                        ; =>  This Loop Header: Depth=2
                                        ;       Child Loop BB0_162 Depth 3
                                        ;       Child Loop BB0_176 Depth 3
	;; [unrolled: 1-line block ×3, first 2 shown]
                                        ;         Child Loop BB0_199 Depth 4
                                        ;         Child Loop BB0_205 Depth 4
	;; [unrolled: 1-line block ×3, first 2 shown]
	v_mov_b32_e32 v7, 1
	s_and_saveexec_b64 s[2:3], vcc
	s_cbranch_execz .LBB0_164
; %bb.161:                              ;   in Loop: Header=BB0_160 Depth=2
	s_mov_b32 s6, 1
	s_mov_b64 s[4:5], 0
	v_mov_b32_e32 v16, v5
.LBB0_162:                              ;   Parent Loop BB0_63 Depth=1
                                        ;     Parent Loop BB0_160 Depth=2
                                        ; =>    This Inner Loop Header: Depth=3
	v_add_u32_e32 v16, -1, v16
	s_lshl_b32 s6, s6, 1
	v_cmp_eq_u32_e64 s[0:1], 0, v16
	s_or_b64 s[4:5], s[0:1], s[4:5]
	v_mov_b32_e32 v7, s6
	s_andn2_b64 exec, exec, s[4:5]
	s_cbranch_execnz .LBB0_162
; %bb.163:                              ;   in Loop: Header=BB0_160 Depth=2
	s_or_b64 exec, exec, s[4:5]
.LBB0_164:                              ;   in Loop: Header=BB0_160 Depth=2
	s_or_b64 exec, exec, s[2:3]
	s_cmp_lg_u32 s51, 0
	v_cmp_lt_u32_e64 s[0:1], s51, v7
	s_cselect_b64 s[2:3], -1, 0
	s_and_b64 s[2:3], s[2:3], s[0:1]
	s_and_saveexec_b64 s[20:21], s[2:3]
	s_cbranch_execz .LBB0_188
; %bb.165:                              ;   in Loop: Header=BB0_160 Depth=2
	v_add_u32_e32 v7, 1, v8
	v_cmp_lt_i32_e64 s[2:3], 0, v8
	v_mov_b32_e32 v8, v7
	s_and_saveexec_b64 s[22:23], s[2:3]
	s_cbranch_execz .LBB0_187
; %bb.166:                              ;   in Loop: Header=BB0_160 Depth=2
	v_mov_b32_e32 v8, s17
	s_mov_b64 s[26:27], 9
	s_mov_b64 s[24:25], 0
                                        ; implicit-def: $sgpr28_sgpr29
	s_branch .LBB0_176
.LBB0_167:                              ;   in Loop: Header=BB0_176 Depth=3
	s_or_b64 exec, exec, s[4:5]
	s_orn2_b64 s[4:5], s[6:7], exec
.LBB0_168:                              ;   in Loop: Header=BB0_176 Depth=3
	s_or_b64 exec, exec, s[46:47]
	s_orn2_b64 s[4:5], s[4:5], exec
.LBB0_169:                              ;   in Loop: Header=BB0_176 Depth=3
	s_or_b64 exec, exec, s[44:45]
	s_orn2_b64 s[4:5], s[4:5], exec
.LBB0_170:                              ;   in Loop: Header=BB0_176 Depth=3
	s_or_b64 exec, exec, s[42:43]
	s_orn2_b64 s[4:5], s[4:5], exec
.LBB0_171:                              ;   in Loop: Header=BB0_176 Depth=3
	s_or_b64 exec, exec, s[40:41]
	s_orn2_b64 s[4:5], s[4:5], exec
.LBB0_172:                              ;   in Loop: Header=BB0_176 Depth=3
	s_or_b64 exec, exec, s[38:39]
	s_orn2_b64 s[4:5], s[4:5], exec
.LBB0_173:                              ;   in Loop: Header=BB0_176 Depth=3
	s_or_b64 exec, exec, s[36:37]
	s_orn2_b64 s[4:5], s[4:5], exec
.LBB0_174:                              ;   in Loop: Header=BB0_176 Depth=3
	s_or_b64 exec, exec, s[34:35]
	s_andn2_b64 s[2:3], s[28:29], exec
	s_and_b64 s[4:5], s[4:5], exec
	s_or_b64 s[28:29], s[2:3], s[4:5]
.LBB0_175:                              ;   in Loop: Header=BB0_176 Depth=3
	s_or_b64 exec, exec, s[30:31]
	s_and_b64 s[2:3], exec, s[28:29]
	s_or_b64 s[24:25], s[2:3], s[24:25]
	s_andn2_b64 exec, exec, s[24:25]
	s_cbranch_execz .LBB0_186
.LBB0_176:                              ;   Parent Loop BB0_63 Depth=1
                                        ;     Parent Loop BB0_160 Depth=2
                                        ; =>    This Inner Loop Header: Depth=3
	s_add_u32 s16, s26, -8
	s_cmp_eq_u32 s16, 1
	s_cselect_b64 s[2:3], -1, 0
	s_cmp_eq_u32 s16, 2
	v_cndmask_b32_e64 v7, v8, v9, s[2:3]
	s_cselect_b64 s[4:5], -1, 0
	s_cmp_eq_u32 s16, 3
	v_cndmask_b32_e64 v7, v7, v10, s[4:5]
	;; [unrolled: 3-line block ×3, first 2 shown]
	s_cselect_b64 s[8:9], -1, 0
	v_cndmask_b32_e64 v7, v7, v12, s[8:9]
	v_add_u32_e32 v16, 1, v7
	s_cmp_eq_u32 s16, 0
	v_cndmask_b32_e64 v9, v9, v16, s[2:3]
	s_cselect_b64 s[2:3], -1, 0
	v_cndmask_b32_e64 v12, v12, v16, s[8:9]
	v_cndmask_b32_e64 v11, v11, v16, s[6:7]
	;; [unrolled: 1-line block ×4, first 2 shown]
	v_cmp_lt_i32_e64 s[2:3], 0, v7
	s_or_b64 s[28:29], s[28:29], exec
	s_and_saveexec_b64 s[30:31], s[2:3]
	s_cbranch_execz .LBB0_175
; %bb.177:                              ;   in Loop: Header=BB0_176 Depth=3
	s_cmp_lg_u32 s16, 4
	s_cselect_b64 s[2:3], -1, 0
	s_cmp_lg_u32 s16, 3
	v_cndmask_b32_e64 v7, 0, v12, s[2:3]
	s_cselect_b64 s[2:3], -1, 0
	s_cmp_lg_u32 s16, 2
	v_cndmask_b32_e64 v11, 0, v11, s[2:3]
	s_cselect_b64 s[2:3], -1, 0
	s_cmp_lg_u32 s16, 1
	v_cndmask_b32_e64 v10, 0, v10, s[2:3]
	s_cselect_b64 s[2:3], -1, 0
	s_cmp_lg_u32 s16, 0
	v_cndmask_b32_e64 v9, 0, v9, s[2:3]
	s_cselect_b64 s[2:3], -1, 0
	s_add_u32 s16, s26, -7
	s_cmp_eq_u32 s16, 1
	v_cndmask_b32_e64 v8, 0, v8, s[2:3]
	s_cselect_b64 s[2:3], -1, 0
	s_cmp_eq_u32 s16, 2
	v_cndmask_b32_e64 v12, v8, v9, s[2:3]
	s_cselect_b64 s[4:5], -1, 0
	s_cmp_eq_u32 s16, 3
	v_cndmask_b32_e64 v12, v12, v10, s[4:5]
	s_cselect_b64 s[6:7], -1, 0
	s_cmp_eq_u32 s16, 4
	v_cndmask_b32_e64 v12, v12, v11, s[6:7]
	s_cselect_b64 s[8:9], -1, 0
	v_cndmask_b32_e64 v16, v12, v7, s[8:9]
	v_add_u32_e32 v17, 1, v16
	s_cmp_eq_u32 s16, 0
	v_cndmask_b32_e64 v9, v9, v17, s[2:3]
	s_cselect_b64 s[2:3], -1, 0
	v_cndmask_b32_e64 v12, v7, v17, s[8:9]
	v_cndmask_b32_e64 v11, v11, v17, s[6:7]
	v_cndmask_b32_e64 v10, v10, v17, s[4:5]
	v_cndmask_b32_e64 v8, v8, v17, s[2:3]
	v_cmp_lt_i32_e64 s[2:3], 0, v16
	s_mov_b64 s[4:5], -1
	s_and_saveexec_b64 s[34:35], s[2:3]
	s_cbranch_execz .LBB0_174
; %bb.178:                              ;   in Loop: Header=BB0_176 Depth=3
	s_cmp_lg_u32 s16, 4
	s_cselect_b64 s[2:3], -1, 0
	s_cmp_lg_u32 s16, 3
	v_cndmask_b32_e64 v7, 0, v12, s[2:3]
	s_cselect_b64 s[2:3], -1, 0
	s_cmp_lg_u32 s16, 2
	v_cndmask_b32_e64 v11, 0, v11, s[2:3]
	s_cselect_b64 s[2:3], -1, 0
	s_cmp_lg_u32 s16, 1
	v_cndmask_b32_e64 v10, 0, v10, s[2:3]
	s_cselect_b64 s[2:3], -1, 0
	s_cmp_lg_u32 s16, 0
	v_cndmask_b32_e64 v9, 0, v9, s[2:3]
	s_cselect_b64 s[2:3], -1, 0
	s_add_u32 s16, s26, -6
	s_cmp_eq_u32 s16, 1
	v_cndmask_b32_e64 v8, 0, v8, s[2:3]
	s_cselect_b64 s[2:3], -1, 0
	s_cmp_eq_u32 s16, 2
	v_cndmask_b32_e64 v12, v8, v9, s[2:3]
	s_cselect_b64 s[4:5], -1, 0
	s_cmp_eq_u32 s16, 3
	v_cndmask_b32_e64 v12, v12, v10, s[4:5]
	s_cselect_b64 s[6:7], -1, 0
	s_cmp_eq_u32 s16, 4
	v_cndmask_b32_e64 v12, v12, v11, s[6:7]
	s_cselect_b64 s[8:9], -1, 0
	v_cndmask_b32_e64 v16, v12, v7, s[8:9]
	v_add_u32_e32 v17, 1, v16
	s_cmp_eq_u32 s16, 0
	v_cndmask_b32_e64 v9, v9, v17, s[2:3]
	s_cselect_b64 s[2:3], -1, 0
	v_cndmask_b32_e64 v12, v7, v17, s[8:9]
	v_cndmask_b32_e64 v11, v11, v17, s[6:7]
	v_cndmask_b32_e64 v10, v10, v17, s[4:5]
	v_cndmask_b32_e64 v8, v8, v17, s[2:3]
	v_cmp_lt_i32_e64 s[2:3], 0, v16
	s_mov_b64 s[4:5], -1
	;; [unrolled: 41-line block ×7, first 2 shown]
	s_and_saveexec_b64 s[46:47], s[2:3]
	s_cbranch_execz .LBB0_168
; %bb.184:                              ;   in Loop: Header=BB0_176 Depth=3
	s_cmp_lg_u32 s16, 4
	s_cselect_b64 s[2:3], -1, 0
	s_cmp_lg_u32 s16, 3
	v_cndmask_b32_e64 v7, 0, v12, s[2:3]
	s_cselect_b64 s[2:3], -1, 0
	s_cmp_lg_u32 s16, 2
	v_cndmask_b32_e64 v11, 0, v11, s[2:3]
	;; [unrolled: 3-line block ×4, first 2 shown]
	s_cselect_b64 s[2:3], -1, 0
	s_cmp_eq_u32 s26, 1
	v_cndmask_b32_e64 v8, 0, v8, s[2:3]
	s_cselect_b64 s[2:3], -1, 0
	s_cmp_eq_u32 s26, 2
	v_cndmask_b32_e64 v12, v8, v9, s[2:3]
	;; [unrolled: 3-line block ×4, first 2 shown]
	s_cselect_b64 s[8:9], -1, 0
	v_cndmask_b32_e64 v16, v12, v7, s[8:9]
	v_add_u32_e32 v17, 1, v16
	s_cmp_eq_u32 s26, 0
	v_cndmask_b32_e64 v9, v9, v17, s[2:3]
	s_cselect_b64 s[2:3], -1, 0
	v_cndmask_b32_e64 v12, v7, v17, s[8:9]
	v_cndmask_b32_e64 v11, v11, v17, s[6:7]
	;; [unrolled: 1-line block ×4, first 2 shown]
	v_cmp_lt_i32_e64 s[2:3], 0, v16
	s_mov_b64 s[6:7], -1
	s_and_saveexec_b64 s[4:5], s[2:3]
	s_cbranch_execz .LBB0_167
; %bb.185:                              ;   in Loop: Header=BB0_176 Depth=3
	s_cmp_lg_u32 s26, 4
	s_cselect_b64 s[2:3], -1, 0
	s_cmp_lg_u32 s26, 3
	v_cndmask_b32_e64 v12, 0, v12, s[2:3]
	s_cselect_b64 s[2:3], -1, 0
	s_cmp_lg_u32 s26, 2
	v_cndmask_b32_e64 v11, 0, v11, s[2:3]
	;; [unrolled: 3-line block ×4, first 2 shown]
	s_cselect_b64 s[2:3], -1, 0
	s_add_u32 s26, s26, 9
	s_addc_u32 s27, s27, 0
	s_cmp_eq_u32 s26, 54
	v_cndmask_b32_e64 v8, 0, v8, s[2:3]
	s_cselect_b64 s[2:3], -1, 0
	s_orn2_b64 s[6:7], s[2:3], exec
	s_branch .LBB0_167
.LBB0_186:                              ;   in Loop: Header=BB0_160 Depth=2
	s_or_b64 exec, exec, s[24:25]
.LBB0_187:                              ;   in Loop: Header=BB0_160 Depth=2
	s_or_b64 exec, exec, s[22:23]
.LBB0_188:                              ;   in Loop: Header=BB0_160 Depth=2
	s_or_b64 exec, exec, s[20:21]
	s_mov_b64 s[2:3], -1
	s_and_saveexec_b64 s[8:9], s[0:1]
	s_cbranch_execz .LBB0_159
; %bb.189:                              ;   in Loop: Header=BB0_160 Depth=2
	v_mov_b32_e32 v7, v6
	s_mov_b32 s34, 0
	v_mov_b64_e32 v[16:17], v[6:7]
	s_branch .LBB0_191
.LBB0_190:                              ;   in Loop: Header=BB0_191 Depth=3
	s_or_b64 exec, exec, s[2:3]
	s_add_i32 s34, s34, 3
	s_cmpk_eq_i32 s34, 0x258
	s_cbranch_scc1 .LBB0_158
.LBB0_191:                              ;   Parent Loop BB0_63 Depth=1
                                        ;     Parent Loop BB0_160 Depth=2
                                        ; =>    This Loop Header: Depth=3
                                        ;         Child Loop BB0_199 Depth 4
                                        ;         Child Loop BB0_205 Depth 4
	;; [unrolled: 1-line block ×3, first 2 shown]
	s_mul_i32 s35, s34, 45
	s_mov_b64 s[0:1], -1
	s_and_saveexec_b64 s[20:21], vcc
	s_cbranch_execnz .LBB0_197
; %bb.192:                              ;   in Loop: Header=BB0_191 Depth=3
	s_or_b64 exec, exec, s[20:21]
	s_and_saveexec_b64 s[2:3], s[0:1]
	s_cbranch_execnz .LBB0_202
.LBB0_193:                              ;   in Loop: Header=BB0_191 Depth=3
	s_or_b64 exec, exec, s[2:3]
	s_mov_b64 s[0:1], -1
	s_and_saveexec_b64 s[20:21], vcc
	s_cbranch_execnz .LBB0_203
.LBB0_194:                              ;   in Loop: Header=BB0_191 Depth=3
	s_or_b64 exec, exec, s[20:21]
	s_and_saveexec_b64 s[2:3], s[0:1]
	s_cbranch_execnz .LBB0_208
.LBB0_195:                              ;   in Loop: Header=BB0_191 Depth=3
	s_or_b64 exec, exec, s[2:3]
	s_mov_b64 s[0:1], -1
	s_and_saveexec_b64 s[20:21], vcc
	s_cbranch_execnz .LBB0_209
.LBB0_196:                              ;   in Loop: Header=BB0_191 Depth=3
	s_or_b64 exec, exec, s[20:21]
	s_and_saveexec_b64 s[2:3], s[0:1]
	s_cbranch_execz .LBB0_190
	s_branch .LBB0_214
.LBB0_197:                              ;   in Loop: Header=BB0_191 Depth=3
	s_mov_b64 s[22:23], 0
	s_mov_b64 s[30:31], 0
                                        ; implicit-def: $sgpr24_sgpr25
                                        ; implicit-def: $sgpr28_sgpr29
                                        ; implicit-def: $sgpr26_sgpr27
	s_branch .LBB0_199
.LBB0_198:                              ;   in Loop: Header=BB0_199 Depth=4
	s_or_b64 exec, exec, s[2:3]
	s_xor_b64 s[0:1], s[26:27], -1
	s_and_b64 s[2:3], exec, s[28:29]
	s_or_b64 s[22:23], s[2:3], s[22:23]
	s_andn2_b64 s[2:3], s[24:25], exec
	s_and_b64 s[0:1], s[0:1], exec
	s_or_b64 s[24:25], s[2:3], s[0:1]
	s_andn2_b64 exec, exec, s[22:23]
	s_cbranch_execz .LBB0_201
.LBB0_199:                              ;   Parent Loop BB0_63 Depth=1
                                        ;     Parent Loop BB0_160 Depth=2
                                        ;       Parent Loop BB0_191 Depth=3
                                        ; =>      This Inner Loop Header: Depth=4
	s_cmp_eq_u32 s30, 1
	s_cselect_b64 s[0:1], -1, 0
	s_cmp_eq_u32 s30, 2
	v_cndmask_b32_e64 v7, v0, v1, s[0:1]
	s_cselect_b64 s[2:3], -1, 0
	s_cmp_eq_u32 s30, 3
	v_cndmask_b32_e64 v7, v7, v2, s[2:3]
	;; [unrolled: 3-line block ×3, first 2 shown]
	s_cselect_b64 s[6:7], -1, 0
	v_cndmask_b32_e64 v7, v7, v4, s[6:7]
	v_lshl_add_u32 v7, v7, 2, v58
	scratch_load_dword v7, v7, off
	v_cndmask_b32_e64 v59, v8, v9, s[0:1]
	v_cndmask_b32_e64 v59, v59, v10, s[2:3]
	;; [unrolled: 1-line block ×4, first 2 shown]
	s_or_b64 s[26:27], s[26:27], exec
	s_or_b64 s[28:29], s[28:29], exec
	s_waitcnt vmcnt(0)
	v_add_u32_e32 v60, s35, v7
	v_ashrrev_i32_e32 v61, 31, v60
	v_lshl_add_u64 v[60:61], v[60:61], 2, s[14:15]
	global_load_dword v7, v[60:61], off
	s_waitcnt vmcnt(0)
	v_cmp_eq_u32_e64 s[0:1], v7, v59
	s_and_saveexec_b64 s[2:3], s[0:1]
	s_cbranch_execz .LBB0_198
; %bb.200:                              ;   in Loop: Header=BB0_199 Depth=4
	s_add_u32 s30, s30, 1
	v_cmp_eq_u32_e64 s[0:1], s30, v18
	s_addc_u32 s31, s31, 0
	s_andn2_b64 s[4:5], s[28:29], exec
	s_and_b64 s[0:1], s[0:1], exec
	s_andn2_b64 s[26:27], s[26:27], exec
	s_or_b64 s[28:29], s[4:5], s[0:1]
	s_branch .LBB0_198
.LBB0_201:                              ;   in Loop: Header=BB0_191 Depth=3
	s_or_b64 exec, exec, s[22:23]
	s_orn2_b64 s[0:1], s[24:25], exec
	s_or_b64 exec, exec, s[20:21]
	s_and_saveexec_b64 s[2:3], s[0:1]
	s_cbranch_execz .LBB0_193
.LBB0_202:                              ;   in Loop: Header=BB0_191 Depth=3
	s_add_i32 s16, s35, s50
	s_lshl_b64 s[0:1], s[16:17], 2
	s_add_u32 s0, s14, s0
	s_addc_u32 s1, s15, s1
	s_load_dword s4, s[0:1], 0x0
	s_waitcnt lgkmcnt(0)
	s_cmp_eq_u32 s4, 1
	s_cselect_b64 s[0:1], -1, 0
	v_cndmask_b32_e64 v7, v16, v17, s[0:1]
	s_cmp_eq_u32 s4, 0
	v_add_u32_e32 v7, 1, v7
	v_cndmask_b32_e64 v17, v17, v7, s[0:1]
	s_cselect_b64 s[0:1], -1, 0
	v_cndmask_b32_e64 v16, v16, v7, s[0:1]
	s_or_b64 exec, exec, s[2:3]
	s_mov_b64 s[0:1], -1
	s_and_saveexec_b64 s[20:21], vcc
	s_cbranch_execz .LBB0_194
.LBB0_203:                              ;   in Loop: Header=BB0_191 Depth=3
	s_add_i32 s16, s35, 45
	s_mov_b64 s[22:23], 0
	s_mov_b64 s[30:31], 0
                                        ; implicit-def: $sgpr24_sgpr25
                                        ; implicit-def: $sgpr28_sgpr29
                                        ; implicit-def: $sgpr26_sgpr27
	s_branch .LBB0_205
.LBB0_204:                              ;   in Loop: Header=BB0_205 Depth=4
	s_or_b64 exec, exec, s[2:3]
	s_xor_b64 s[0:1], s[26:27], -1
	s_and_b64 s[2:3], exec, s[28:29]
	s_or_b64 s[22:23], s[2:3], s[22:23]
	s_andn2_b64 s[2:3], s[24:25], exec
	s_and_b64 s[0:1], s[0:1], exec
	s_or_b64 s[24:25], s[2:3], s[0:1]
	s_andn2_b64 exec, exec, s[22:23]
	s_cbranch_execz .LBB0_207
.LBB0_205:                              ;   Parent Loop BB0_63 Depth=1
                                        ;     Parent Loop BB0_160 Depth=2
                                        ;       Parent Loop BB0_191 Depth=3
                                        ; =>      This Inner Loop Header: Depth=4
	s_cmp_eq_u32 s30, 1
	s_cselect_b64 s[0:1], -1, 0
	s_cmp_eq_u32 s30, 2
	v_cndmask_b32_e64 v7, v0, v1, s[0:1]
	s_cselect_b64 s[2:3], -1, 0
	s_cmp_eq_u32 s30, 3
	v_cndmask_b32_e64 v7, v7, v2, s[2:3]
	;; [unrolled: 3-line block ×3, first 2 shown]
	s_cselect_b64 s[6:7], -1, 0
	v_cndmask_b32_e64 v7, v7, v4, s[6:7]
	v_lshl_add_u32 v7, v7, 2, v58
	scratch_load_dword v7, v7, off
	v_cndmask_b32_e64 v59, v8, v9, s[0:1]
	v_cndmask_b32_e64 v59, v59, v10, s[2:3]
	;; [unrolled: 1-line block ×4, first 2 shown]
	s_or_b64 s[26:27], s[26:27], exec
	s_or_b64 s[28:29], s[28:29], exec
	s_waitcnt vmcnt(0)
	v_add_u32_e32 v60, s16, v7
	v_ashrrev_i32_e32 v61, 31, v60
	v_lshl_add_u64 v[60:61], v[60:61], 2, s[14:15]
	global_load_dword v7, v[60:61], off
	s_waitcnt vmcnt(0)
	v_cmp_eq_u32_e64 s[0:1], v7, v59
	s_and_saveexec_b64 s[2:3], s[0:1]
	s_cbranch_execz .LBB0_204
; %bb.206:                              ;   in Loop: Header=BB0_205 Depth=4
	s_add_u32 s30, s30, 1
	v_cmp_eq_u32_e64 s[0:1], s30, v18
	s_addc_u32 s31, s31, 0
	s_andn2_b64 s[4:5], s[28:29], exec
	s_and_b64 s[0:1], s[0:1], exec
	s_andn2_b64 s[26:27], s[26:27], exec
	s_or_b64 s[28:29], s[4:5], s[0:1]
	s_branch .LBB0_204
.LBB0_207:                              ;   in Loop: Header=BB0_191 Depth=3
	s_or_b64 exec, exec, s[22:23]
	s_orn2_b64 s[0:1], s[24:25], exec
	s_or_b64 exec, exec, s[20:21]
	s_and_saveexec_b64 s[2:3], s[0:1]
	s_cbranch_execz .LBB0_195
.LBB0_208:                              ;   in Loop: Header=BB0_191 Depth=3
	s_add_i32 s16, s35, s50
	s_lshl_b64 s[0:1], s[16:17], 2
	s_add_u32 s0, s14, s0
	s_addc_u32 s1, s15, s1
	s_load_dword s4, s[0:1], 0xb4
	s_waitcnt lgkmcnt(0)
	s_cmp_eq_u32 s4, 1
	s_cselect_b64 s[0:1], -1, 0
	v_cndmask_b32_e64 v7, v16, v17, s[0:1]
	s_cmp_eq_u32 s4, 0
	v_add_u32_e32 v7, 1, v7
	v_cndmask_b32_e64 v17, v17, v7, s[0:1]
	s_cselect_b64 s[0:1], -1, 0
	v_cndmask_b32_e64 v16, v16, v7, s[0:1]
	s_or_b64 exec, exec, s[2:3]
	s_mov_b64 s[0:1], -1
	s_and_saveexec_b64 s[20:21], vcc
	s_cbranch_execz .LBB0_196
.LBB0_209:                              ;   in Loop: Header=BB0_191 Depth=3
	s_add_i32 s16, s35, 0x5a
	s_mov_b64 s[22:23], 0
	s_mov_b64 s[30:31], 0
                                        ; implicit-def: $sgpr24_sgpr25
                                        ; implicit-def: $sgpr28_sgpr29
                                        ; implicit-def: $sgpr26_sgpr27
	s_branch .LBB0_211
.LBB0_210:                              ;   in Loop: Header=BB0_211 Depth=4
	s_or_b64 exec, exec, s[2:3]
	s_xor_b64 s[0:1], s[26:27], -1
	s_and_b64 s[2:3], exec, s[28:29]
	s_or_b64 s[22:23], s[2:3], s[22:23]
	s_andn2_b64 s[2:3], s[24:25], exec
	s_and_b64 s[0:1], s[0:1], exec
	s_or_b64 s[24:25], s[2:3], s[0:1]
	s_andn2_b64 exec, exec, s[22:23]
	s_cbranch_execz .LBB0_213
.LBB0_211:                              ;   Parent Loop BB0_63 Depth=1
                                        ;     Parent Loop BB0_160 Depth=2
                                        ;       Parent Loop BB0_191 Depth=3
                                        ; =>      This Inner Loop Header: Depth=4
	s_cmp_eq_u32 s30, 1
	s_cselect_b64 s[0:1], -1, 0
	s_cmp_eq_u32 s30, 2
	v_cndmask_b32_e64 v7, v0, v1, s[0:1]
	s_cselect_b64 s[2:3], -1, 0
	s_cmp_eq_u32 s30, 3
	v_cndmask_b32_e64 v7, v7, v2, s[2:3]
	;; [unrolled: 3-line block ×3, first 2 shown]
	s_cselect_b64 s[6:7], -1, 0
	v_cndmask_b32_e64 v7, v7, v4, s[6:7]
	v_lshl_add_u32 v7, v7, 2, v58
	scratch_load_dword v7, v7, off
	v_cndmask_b32_e64 v59, v8, v9, s[0:1]
	v_cndmask_b32_e64 v59, v59, v10, s[2:3]
	;; [unrolled: 1-line block ×4, first 2 shown]
	s_or_b64 s[26:27], s[26:27], exec
	s_or_b64 s[28:29], s[28:29], exec
	s_waitcnt vmcnt(0)
	v_add_u32_e32 v60, s16, v7
	v_ashrrev_i32_e32 v61, 31, v60
	v_lshl_add_u64 v[60:61], v[60:61], 2, s[14:15]
	global_load_dword v7, v[60:61], off
	s_waitcnt vmcnt(0)
	v_cmp_eq_u32_e64 s[0:1], v7, v59
	s_and_saveexec_b64 s[2:3], s[0:1]
	s_cbranch_execz .LBB0_210
; %bb.212:                              ;   in Loop: Header=BB0_211 Depth=4
	s_add_u32 s30, s30, 1
	v_cmp_eq_u32_e64 s[0:1], s30, v18
	s_addc_u32 s31, s31, 0
	s_andn2_b64 s[4:5], s[28:29], exec
	s_and_b64 s[0:1], s[0:1], exec
	s_andn2_b64 s[26:27], s[26:27], exec
	s_or_b64 s[28:29], s[4:5], s[0:1]
	s_branch .LBB0_210
.LBB0_213:                              ;   in Loop: Header=BB0_191 Depth=3
	s_or_b64 exec, exec, s[22:23]
	s_orn2_b64 s[0:1], s[24:25], exec
	s_or_b64 exec, exec, s[20:21]
	s_and_saveexec_b64 s[2:3], s[0:1]
	s_cbranch_execz .LBB0_190
.LBB0_214:                              ;   in Loop: Header=BB0_191 Depth=3
	s_add_i32 s16, s35, s50
	s_lshl_b64 s[0:1], s[16:17], 2
	s_add_u32 s0, s14, s0
	s_addc_u32 s1, s15, s1
	s_load_dword s4, s[0:1], 0x168
	s_waitcnt lgkmcnt(0)
	s_cmp_eq_u32 s4, 1
	s_cselect_b64 s[0:1], -1, 0
	v_cndmask_b32_e64 v7, v16, v17, s[0:1]
	s_cmp_eq_u32 s4, 0
	v_add_u32_e32 v7, 1, v7
	v_cndmask_b32_e64 v17, v17, v7, s[0:1]
	s_cselect_b64 s[0:1], -1, 0
	v_cndmask_b32_e64 v16, v16, v7, s[0:1]
	s_branch .LBB0_190
.LBB0_215:
	s_endpgm
	.section	.rodata,"a",@progbits
	.p2align	6, 0x0
	.amdhsa_kernel _Z14genScoreKerneliPfPKiPKf
		.amdhsa_group_segment_fixed_size 0
		.amdhsa_private_segment_fixed_size 192
		.amdhsa_kernarg_size 32
		.amdhsa_user_sgpr_count 2
		.amdhsa_user_sgpr_dispatch_ptr 0
		.amdhsa_user_sgpr_queue_ptr 0
		.amdhsa_user_sgpr_kernarg_segment_ptr 1
		.amdhsa_user_sgpr_dispatch_id 0
		.amdhsa_user_sgpr_kernarg_preload_length 0
		.amdhsa_user_sgpr_kernarg_preload_offset 0
		.amdhsa_user_sgpr_private_segment_size 0
		.amdhsa_uses_dynamic_stack 0
		.amdhsa_enable_private_segment 1
		.amdhsa_system_sgpr_workgroup_id_x 1
		.amdhsa_system_sgpr_workgroup_id_y 0
		.amdhsa_system_sgpr_workgroup_id_z 0
		.amdhsa_system_sgpr_workgroup_info 0
		.amdhsa_system_vgpr_workitem_id 0
		.amdhsa_next_free_vgpr 66
		.amdhsa_next_free_sgpr 52
		.amdhsa_accum_offset 68
		.amdhsa_reserve_vcc 1
		.amdhsa_float_round_mode_32 0
		.amdhsa_float_round_mode_16_64 0
		.amdhsa_float_denorm_mode_32 3
		.amdhsa_float_denorm_mode_16_64 3
		.amdhsa_dx10_clamp 1
		.amdhsa_ieee_mode 1
		.amdhsa_fp16_overflow 0
		.amdhsa_tg_split 0
		.amdhsa_exception_fp_ieee_invalid_op 0
		.amdhsa_exception_fp_denorm_src 0
		.amdhsa_exception_fp_ieee_div_zero 0
		.amdhsa_exception_fp_ieee_overflow 0
		.amdhsa_exception_fp_ieee_underflow 0
		.amdhsa_exception_fp_ieee_inexact 0
		.amdhsa_exception_int_div_zero 0
	.end_amdhsa_kernel
	.text
.Lfunc_end0:
	.size	_Z14genScoreKerneliPfPKiPKf, .Lfunc_end0-_Z14genScoreKerneliPfPKiPKf
                                        ; -- End function
	.set _Z14genScoreKerneliPfPKiPKf.num_vgpr, 66
	.set _Z14genScoreKerneliPfPKiPKf.num_agpr, 0
	.set _Z14genScoreKerneliPfPKiPKf.numbered_sgpr, 52
	.set _Z14genScoreKerneliPfPKiPKf.num_named_barrier, 0
	.set _Z14genScoreKerneliPfPKiPKf.private_seg_size, 192
	.set _Z14genScoreKerneliPfPKiPKf.uses_vcc, 1
	.set _Z14genScoreKerneliPfPKiPKf.uses_flat_scratch, 0
	.set _Z14genScoreKerneliPfPKiPKf.has_dyn_sized_stack, 0
	.set _Z14genScoreKerneliPfPKiPKf.has_recursion, 0
	.set _Z14genScoreKerneliPfPKiPKf.has_indirect_call, 0
	.section	.AMDGPU.csdata,"",@progbits
; Kernel info:
; codeLenInByte = 7776
; TotalNumSgprs: 58
; NumVgprs: 66
; NumAgprs: 0
; TotalNumVgprs: 66
; ScratchSize: 192
; MemoryBound: 0
; FloatMode: 240
; IeeeMode: 1
; LDSByteSize: 0 bytes/workgroup (compile time only)
; SGPRBlocks: 7
; VGPRBlocks: 8
; NumSGPRsForWavesPerEU: 58
; NumVGPRsForWavesPerEU: 66
; AccumOffset: 68
; Occupancy: 7
; WaveLimiterHint : 0
; COMPUTE_PGM_RSRC2:SCRATCH_EN: 1
; COMPUTE_PGM_RSRC2:USER_SGPR: 2
; COMPUTE_PGM_RSRC2:TRAP_HANDLER: 0
; COMPUTE_PGM_RSRC2:TGID_X_EN: 1
; COMPUTE_PGM_RSRC2:TGID_Y_EN: 0
; COMPUTE_PGM_RSRC2:TGID_Z_EN: 0
; COMPUTE_PGM_RSRC2:TIDIG_COMP_CNT: 0
; COMPUTE_PGM_RSRC3_GFX90A:ACCUM_OFFSET: 16
; COMPUTE_PGM_RSRC3_GFX90A:TG_SPLIT: 0
	.text
	.protected	_Z13computeKerneliiPKfPKbiiPfPi ; -- Begin function _Z13computeKerneliiPKfPKbiiPfPi
	.globl	_Z13computeKerneliiPKfPKbiiPfPi
	.p2align	8
	.type	_Z13computeKerneliiPKfPKbiiPfPi,@function
_Z13computeKerneliiPKfPKbiiPfPi:        ; @_Z13computeKerneliiPKfPKbiiPfPi
; %bb.0:
	s_load_dwordx4 s[8:11], s[0:1], 0x8
	v_mov_b32_e32 v1, 0
	s_mov_b32 s4, 0
	s_mov_b32 s5, s4
	;; [unrolled: 1-line block ×3, first 2 shown]
	s_waitcnt lgkmcnt(0)
	global_load_ubyte v2, v1, s[10:11]
	s_mov_b32 s7, s4
	v_mov_b64_e32 v[4:5], s[4:5]
	v_mov_b64_e32 v[6:7], s[6:7]
	s_getpc_b64 s[4:5]
	s_add_u32 s4, s4, __const._Z13computeKerneliiPKfPKbiiPfPi.parent@rel32@lo+4
	s_addc_u32 s5, s5, __const._Z13computeKerneliiPKfPKbiiPfPi.parent@rel32@hi+12
	s_load_dwordx4 s[4:7], s[4:5], 0x0
	scratch_store_dword off, v1, off offset:176
	scratch_store_dwordx4 off, v[4:7], off offset:160
	scratch_store_dwordx4 off, v[4:7], off offset:144
	;; [unrolled: 1-line block ×10, first 2 shown]
	scratch_store_dwordx4 off, v[4:7], off
	s_waitcnt vmcnt(12)
	v_and_b32_e32 v2, 1, v2
	s_waitcnt lgkmcnt(0)
	v_mov_b64_e32 v[4:5], s[4:5]
	v_cmp_eq_u32_e32 vcc, 1, v2
	v_mov_b64_e32 v[6:7], s[6:7]
	scratch_store_dwordx4 off, v[4:7], off offset:192
	scratch_store_dword off, v1, off offset:208
	s_cbranch_vccz .LBB1_2
; %bb.1:
	s_or_b32 s3, 0, 8
	s_mov_b32 s12, 2
	scratch_store_dword off, v1, off offset:4
	global_load_ubyte v1, v1, s[10:11] offset:1
	s_waitcnt vmcnt(0)
	v_cmp_eq_u32_e32 vcc, 0, v1
	s_cbranch_vccz .LBB1_3
	s_branch .LBB1_4
.LBB1_2:
	s_or_b32 s3, 0, 4
	s_mov_b32 s12, 1
	global_load_ubyte v1, v1, s[10:11] offset:1
	s_waitcnt vmcnt(0)
	v_cmp_eq_u32_e32 vcc, 0, v1
	s_cbranch_vccnz .LBB1_4
.LBB1_3:
	v_mov_b32_e32 v1, 1
	s_add_i32 s12, s12, 1
	scratch_store_dword off, v1, s3
.LBB1_4:
	v_mov_b32_e32 v1, 0
	global_load_ubyte v2, v1, s[10:11] offset:2
	s_waitcnt vmcnt(0)
	v_cmp_eq_u32_e32 vcc, 0, v2
	s_cbranch_vccnz .LBB1_6
; %bb.5:
	s_lshl_b32 s3, s12, 2
	s_add_i32 s12, s12, 1
	v_mov_b32_e32 v2, 2
	scratch_store_dword off, v2, s3
.LBB1_6:
	global_load_ubyte v1, v1, s[10:11] offset:3
	s_waitcnt vmcnt(0)
	v_cmp_eq_u32_e32 vcc, 0, v1
	s_cbranch_vccnz .LBB1_8
; %bb.7:
	s_lshl_b32 s3, s12, 2
	s_add_i32 s12, s12, 1
	v_mov_b32_e32 v1, 3
	scratch_store_dword off, v1, s3
.LBB1_8:
	v_mov_b32_e32 v1, 0
	global_load_ubyte v2, v1, s[10:11] offset:4
	s_waitcnt vmcnt(0)
	v_cmp_eq_u32_e32 vcc, 0, v2
	s_cbranch_vccnz .LBB1_10
; %bb.9:
	s_lshl_b32 s3, s12, 2
	s_add_i32 s12, s12, 1
	v_mov_b32_e32 v2, 4
	scratch_store_dword off, v2, s3
.LBB1_10:
	global_load_ubyte v1, v1, s[10:11] offset:5
	s_waitcnt vmcnt(0)
	v_cmp_eq_u32_e32 vcc, 0, v1
	s_cbranch_vccnz .LBB1_12
; %bb.11:
	s_lshl_b32 s3, s12, 2
	s_add_i32 s12, s12, 1
	v_mov_b32_e32 v1, 5
	scratch_store_dword off, v1, s3
.LBB1_12:
	;; [unrolled: 21-line block ×21, first 2 shown]
	v_mov_b32_e32 v1, 0
	global_load_ubyte v1, v1, s[10:11] offset:44
	s_waitcnt vmcnt(0)
	v_cmp_eq_u32_e32 vcc, 0, v1
	s_cbranch_vccnz .LBB1_90
; %bb.89:
	s_lshl_b32 s3, s12, 2
	s_add_i32 s12, s12, 1
	v_mov_b32_e32 v1, 44
	scratch_store_dword off, v1, s3
.LBB1_90:
	s_load_dwordx2 s[10:11], s[0:1], 0x0
	s_waitcnt lgkmcnt(0)
	s_cmp_gt_i32 s10, 0
	s_cbranch_scc0 .LBB1_203
; %bb.91:
	s_load_dwordx2 s[14:15], s[0:1], 0x18
	v_lshl_add_u32 v1, s2, 8, v0
	s_movk_i32 s3, 0xc0
	s_mov_b32 s16, 0
	v_mov_b32_e32 v6, -1
	v_mul_lo_u32 v17, v1, s10
	v_or_b32_e64 v18, s3, 4
	v_or_b32_e64 v19, s3, 8
	;; [unrolled: 1-line block ×3, first 2 shown]
	v_add_u32_e64 v21, s3, 16
	s_waitcnt lgkmcnt(0)
	s_mul_i32 s3, s14, s11
	s_add_i32 s13, s12, -1
	s_movk_i32 s11, 0xbc
	s_mov_b32 s17, 1
	v_mov_b32_e32 v16, 0xd8635fa9
	s_mov_b64 s[18:19], 0
	v_mov_b32_e32 v2, 0
	v_mov_b32_e32 v3, 0
	;; [unrolled: 1-line block ×8, first 2 shown]
	s_mov_b32 s33, s16
                                        ; implicit-def: $sgpr20_sgpr21
	s_branch .LBB1_94
.LBB1_92:                               ;   in Loop: Header=BB1_94 Depth=1
	s_or_b64 exec, exec, s[4:5]
	v_add_u32_e32 v10, s3, v1
	v_ashrrev_i32_e32 v11, 31, v10
	v_lshl_add_u64 v[10:11], v[10:11], 2, s[8:9]
	global_load_dword v1, v[10:11], off
	s_nop 0
	scratch_load_dwordx4 v[10:13], off, off offset:196
	s_add_i32 s33, s33, 1
	s_cmp_eq_u32 s33, s10
	s_cselect_b64 s[4:5], -1, 0
	s_andn2_b64 s[6:7], s[20:21], exec
	s_and_b64 s[4:5], s[4:5], exec
	s_or_b64 s[20:21], s[6:7], s[4:5]
	s_waitcnt vmcnt(1)
	v_cmp_gt_f32_e32 vcc, v1, v16
	s_nop 1
	v_cndmask_b32_e32 v16, v16, v1, vcc
	s_waitcnt vmcnt(0)
	v_cndmask_b32_e32 v2, v2, v10, vcc
	v_cndmask_b32_e32 v3, v3, v11, vcc
	;; [unrolled: 1-line block ×4, first 2 shown]
.LBB1_93:                               ;   in Loop: Header=BB1_94 Depth=1
	s_or_b64 exec, exec, s[22:23]
	s_and_b64 s[4:5], exec, s[20:21]
	s_or_b64 s[18:19], s[4:5], s[18:19]
	s_andn2_b64 exec, exec, s[18:19]
	s_cbranch_execz .LBB1_202
.LBB1_94:                               ; =>This Loop Header: Depth=1
                                        ;     Child Loop BB1_98 Depth 2
                                        ;       Child Loop BB1_100 Depth 3
                                        ;       Child Loop BB1_103 Depth 3
	;; [unrolled: 1-line block ×3, first 2 shown]
                                        ;     Child Loop BB1_111 Depth 2
                                        ;     Child Loop BB1_115 Depth 2
	;; [unrolled: 1-line block ×4, first 2 shown]
                                        ;       Child Loop BB1_126 Depth 3
                                        ;         Child Loop BB1_128 Depth 4
                                        ;         Child Loop BB1_132 Depth 4
	;; [unrolled: 1-line block ×3, first 2 shown]
                                        ;       Child Loop BB1_140 Depth 3
                                        ;       Child Loop BB1_144 Depth 3
	;; [unrolled: 1-line block ×3, first 2 shown]
                                        ;     Child Loop BB1_153 Depth 2
                                        ;     Child Loop BB1_168 Depth 2
	;; [unrolled: 1-line block ×3, first 2 shown]
                                        ;       Child Loop BB1_173 Depth 3
                                        ;       Child Loop BB1_176 Depth 3
	;; [unrolled: 1-line block ×3, first 2 shown]
                                        ;     Child Loop BB1_184 Depth 2
                                        ;       Child Loop BB1_186 Depth 3
                                        ;         Child Loop BB1_188 Depth 4
                                        ;         Child Loop BB1_192 Depth 4
                                        ;         Child Loop BB1_195 Depth 4
	v_add_u32_e32 v12, s33, v17
	v_cmp_gt_u32_e32 vcc, s15, v12
	s_or_b64 s[20:21], s[20:21], exec
	s_and_saveexec_b64 s[22:23], vcc
	s_cbranch_execz .LBB1_93
; %bb.95:                               ;   in Loop: Header=BB1_94 Depth=1
	v_cmp_ne_u32_e32 vcc, 0, v12
	s_and_saveexec_b64 s[4:5], vcc
	s_xor_b64 s[24:25], exec, s[4:5]
	s_cbranch_execz .LBB1_158
; %bb.96:                               ;   in Loop: Header=BB1_94 Depth=1
	v_mov_b32_e32 v13, 0
	v_cmp_lt_i32_e32 vcc, 0, v12
	v_mov_b32_e32 v1, 1
	s_and_saveexec_b64 s[4:5], vcc
	s_cbranch_execz .LBB1_108
; %bb.97:                               ;   in Loop: Header=BB1_94 Depth=1
	s_mov_b32 s28, 0
	s_mov_b32 s29, 1
	s_mov_b64 s[6:7], 0
.LBB1_98:                               ;   Parent Loop BB1_94 Depth=1
                                        ; =>  This Loop Header: Depth=2
                                        ;       Child Loop BB1_100 Depth 3
                                        ;       Child Loop BB1_103 Depth 3
	;; [unrolled: 1-line block ×3, first 2 shown]
	s_mov_b64 s[26:27], -1
	s_cmp_lt_u32 s29, 2
	s_mov_b32 s31, 0
	s_mov_b32 s30, 1
	;; [unrolled: 1-line block ×3, first 2 shown]
	s_cbranch_scc1 .LBB1_102
; %bb.99:                               ;   in Loop: Header=BB1_98 Depth=2
	s_and_b32 s31, s29, -2
	s_mov_b64 s[26:27], s[12:13]
	s_mov_b32 s35, 1
.LBB1_100:                              ;   Parent Loop BB1_94 Depth=1
                                        ;     Parent Loop BB1_98 Depth=2
                                        ; =>    This Inner Loop Header: Depth=3
	s_mul_i32 s35, s35, s27
	s_mul_i32 s30, s30, s26
	s_add_i32 s27, s27, -2
	s_add_i32 s26, s26, -2
	;; [unrolled: 1-line block ×3, first 2 shown]
	s_cmp_lg_u32 s31, 0
	s_cbranch_scc1 .LBB1_100
; %bb.101:                              ;   in Loop: Header=BB1_98 Depth=2
	s_and_b32 s31, s29, 0x7ffffffe
	s_sub_i32 s34, s12, s31
	s_cmp_lg_u32 s29, s31
	s_mul_i32 s30, s30, s35
	s_cselect_b64 s[26:27], -1, 0
.LBB1_102:                              ;   in Loop: Header=BB1_98 Depth=2
	s_and_b64 vcc, exec, s[26:27]
	s_cbranch_vccz .LBB1_104
.LBB1_103:                              ;   Parent Loop BB1_94 Depth=1
                                        ;     Parent Loop BB1_98 Depth=2
                                        ; =>    This Inner Loop Header: Depth=3
	s_mul_i32 s30, s30, s34
	s_add_i32 s34, s34, -1
	s_add_i32 s31, s31, 1
	s_cmp_lg_u32 s29, s31
	s_cbranch_scc1 .LBB1_103
.LBB1_104:                              ;   in Loop: Header=BB1_98 Depth=2
	s_mov_b32 s26, s29
.LBB1_105:                              ;   Parent Loop BB1_94 Depth=1
                                        ;     Parent Loop BB1_98 Depth=2
                                        ; =>    This Inner Loop Header: Depth=3
	s_abs_i32 s31, s26
	v_cvt_f32_u32_e32 v1, s31
	s_sub_i32 s34, 0, s31
	s_xor_b32 s27, s30, s26
	s_abs_i32 s30, s30
	v_rcp_iflag_f32_e32 v1, v1
	s_ashr_i32 s27, s27, 31
	v_mul_f32_e32 v1, 0x4f7ffffe, v1
	v_cvt_u32_f32_e32 v1, v1
	s_nop 0
	v_readfirstlane_b32 s35, v1
	s_mul_i32 s34, s34, s35
	s_mul_hi_u32 s34, s35, s34
	s_add_i32 s35, s35, s34
	s_mul_hi_u32 s34, s30, s35
	s_mul_i32 s35, s34, s31
	s_sub_i32 s30, s30, s35
	s_add_i32 s36, s34, 1
	s_sub_i32 s35, s30, s31
	s_cmp_ge_u32 s30, s31
	s_cselect_b32 s34, s36, s34
	s_cselect_b32 s30, s35, s30
	s_add_i32 s35, s34, 1
	s_cmp_ge_u32 s30, s31
	s_cselect_b32 s30, s35, s34
	s_xor_b32 s30, s30, s27
	s_add_i32 s26, s26, -1
	s_sub_i32 s30, s30, s27
	s_cmp_lg_u32 s26, 0
	s_cbranch_scc1 .LBB1_105
; %bb.106:                              ;   in Loop: Header=BB1_98 Depth=2
	s_add_i32 s28, s30, s28
	s_add_i32 s29, s29, 1
	v_cmp_ge_i32_e32 vcc, s28, v12
	s_or_b64 s[6:7], vcc, s[6:7]
	v_mov_b32_e32 v1, s29
	v_mov_b32_e32 v13, s28
	s_andn2_b64 exec, exec, s[6:7]
	s_cbranch_execnz .LBB1_98
; %bb.107:                              ;   in Loop: Header=BB1_94 Depth=1
	s_or_b64 exec, exec, s[6:7]
.LBB1_108:                              ;   in Loop: Header=BB1_94 Depth=1
	s_or_b64 exec, exec, s[4:5]
	v_add_u32_e32 v23, -1, v1
	v_mov_b32_e32 v10, 1
	v_cmp_lt_u32_e32 vcc, 1, v1
	s_and_saveexec_b64 s[6:7], vcc
	s_cbranch_execz .LBB1_118
; %bb.109:                              ;   in Loop: Header=BB1_94 Depth=1
	v_cmp_ne_u32_e64 s[4:5], 2, v1
	s_mov_b64 s[28:29], -1
	v_mov_b32_e32 v10, 1
	v_mov_b32_e32 v14, 0
	;; [unrolled: 1-line block ×3, first 2 shown]
	s_and_saveexec_b64 s[26:27], s[4:5]
	s_cbranch_execz .LBB1_113
; %bb.110:                              ;   in Loop: Header=BB1_94 Depth=1
	v_and_b32_e32 v14, -2, v23
	s_mov_b32 s30, 1
	s_mov_b64 s[28:29], 0
	v_mov_b32_e32 v15, v14
	s_mov_b64 s[34:35], s[12:13]
	s_mov_b32 s31, s30
.LBB1_111:                              ;   Parent Loop BB1_94 Depth=1
                                        ; =>  This Inner Loop Header: Depth=2
	v_add_u32_e32 v15, -2, v15
	s_mul_i32 s31, s31, s35
	s_mul_i32 s30, s30, s34
	s_add_i32 s35, s35, -2
	s_add_i32 s34, s34, -2
	v_cmp_eq_u32_e64 s[4:5], 0, v15
	s_or_b64 s[28:29], s[4:5], s[28:29]
	v_mov_b64_e32 v[10:11], s[30:31]
	s_andn2_b64 exec, exec, s[28:29]
	s_cbranch_execnz .LBB1_111
; %bb.112:                              ;   in Loop: Header=BB1_94 Depth=1
	s_or_b64 exec, exec, s[28:29]
	v_cmp_ne_u32_e64 s[4:5], v23, v14
	v_sub_u32_e32 v15, s12, v14
	v_mul_lo_u32 v10, v10, v11
	s_orn2_b64 s[28:29], s[4:5], exec
.LBB1_113:                              ;   in Loop: Header=BB1_94 Depth=1
	s_or_b64 exec, exec, s[26:27]
	s_and_saveexec_b64 s[26:27], s[28:29]
	s_cbranch_execz .LBB1_117
; %bb.114:                              ;   in Loop: Header=BB1_94 Depth=1
	v_sub_u32_e32 v11, v23, v14
	s_mov_b64 s[28:29], 0
.LBB1_115:                              ;   Parent Loop BB1_94 Depth=1
                                        ; =>  This Inner Loop Header: Depth=2
	v_add_u32_e32 v11, -1, v11
	v_cmp_eq_u32_e64 s[4:5], 0, v11
	v_mul_lo_u32 v10, v10, v15
	s_or_b64 s[28:29], s[4:5], s[28:29]
	v_add_u32_e32 v15, -1, v15
	s_andn2_b64 exec, exec, s[28:29]
	s_cbranch_execnz .LBB1_115
; %bb.116:                              ;   in Loop: Header=BB1_94 Depth=1
	s_or_b64 exec, exec, s[28:29]
.LBB1_117:                              ;   in Loop: Header=BB1_94 Depth=1
	s_or_b64 exec, exec, s[26:27]
.LBB1_118:                              ;   in Loop: Header=BB1_94 Depth=1
	s_or_b64 exec, exec, s[6:7]
	s_and_saveexec_b64 s[4:5], vcc
	s_cbranch_execz .LBB1_122
; %bb.119:                              ;   in Loop: Header=BB1_94 Depth=1
	s_mov_b64 s[6:7], 0
	v_mov_b32_e32 v11, v23
.LBB1_120:                              ;   Parent Loop BB1_94 Depth=1
                                        ; =>  This Inner Loop Header: Depth=2
	v_sub_u32_e32 v15, 0, v10
	v_sub_u32_e32 v24, 0, v11
	v_xor_b32_e32 v14, v10, v11
	v_max_i32_e32 v10, v10, v15
	v_max_i32_e32 v15, v11, v24
	v_cvt_f32_u32_e32 v24, v15
	v_sub_u32_e32 v25, 0, v15
	v_add_u32_e32 v11, -1, v11
	v_cmp_eq_u32_e32 vcc, 0, v11
	v_rcp_iflag_f32_e32 v24, v24
	s_or_b64 s[6:7], vcc, s[6:7]
	v_ashrrev_i32_e32 v14, 31, v14
	v_mul_f32_e32 v24, 0x4f7ffffe, v24
	v_cvt_u32_f32_e32 v24, v24
	v_mul_lo_u32 v25, v25, v24
	v_mul_hi_u32 v25, v24, v25
	v_add_u32_e32 v24, v24, v25
	v_mul_hi_u32 v24, v10, v24
	v_mul_lo_u32 v25, v24, v15
	v_sub_u32_e32 v10, v10, v25
	v_add_u32_e32 v26, 1, v24
	v_cmp_ge_u32_e32 vcc, v10, v15
	v_sub_u32_e32 v25, v10, v15
	s_nop 0
	v_cndmask_b32_e32 v24, v24, v26, vcc
	v_cndmask_b32_e32 v10, v10, v25, vcc
	v_add_u32_e32 v25, 1, v24
	v_cmp_ge_u32_e32 vcc, v10, v15
	s_nop 1
	v_cndmask_b32_e32 v10, v24, v25, vcc
	v_xor_b32_e32 v10, v10, v14
	v_sub_u32_e32 v10, v10, v14
	s_andn2_b64 exec, exec, s[6:7]
	s_cbranch_execnz .LBB1_120
; %bb.121:                              ;   in Loop: Header=BB1_94 Depth=1
	s_or_b64 exec, exec, s[6:7]
.LBB1_122:                              ;   in Loop: Header=BB1_94 Depth=1
	s_or_b64 exec, exec, s[4:5]
	v_sub_u32_e32 v11, v12, v13
	v_add_u32_e32 v25, v10, v11
	v_cmp_lt_i32_e32 vcc, 2, v1
	v_mov_b32_e32 v24, 0
	v_mov_b32_e32 v26, 0
	s_and_saveexec_b64 s[26:27], vcc
	s_cbranch_execz .LBB1_150
; %bb.123:                              ;   in Loop: Header=BB1_94 Depth=1
	v_add_u32_e32 v24, -2, v1
	s_mov_b32 s40, 0
	s_mov_b64 s[28:29], 0
	v_mov_b32_e32 v26, 0
	v_mov_b32_e32 v10, s12
	;; [unrolled: 1-line block ×3, first 2 shown]
.LBB1_124:                              ;   Parent Loop BB1_94 Depth=1
                                        ; =>  This Loop Header: Depth=2
                                        ;       Child Loop BB1_126 Depth 3
                                        ;         Child Loop BB1_128 Depth 4
                                        ;         Child Loop BB1_132 Depth 4
	;; [unrolled: 1-line block ×3, first 2 shown]
                                        ;       Child Loop BB1_140 Depth 3
                                        ;       Child Loop BB1_144 Depth 3
                                        ;       Child Loop BB1_147 Depth 3
	v_subrev_u32_e32 v30, s40, v24
	v_and_b32_e32 v31, -2, v27
	v_cmp_lt_i32_e32 vcc, 0, v25
	v_add_u32_e32 v23, -1, v23
	v_and_b32_e32 v29, -2, v30
	v_mov_b32_e32 v14, 0
	v_mov_b32_e32 v28, 0
	s_and_saveexec_b64 s[30:31], vcc
	s_cbranch_execz .LBB1_138
; %bb.125:                              ;   in Loop: Header=BB1_124 Depth=2
	v_and_b32_e32 v11, -2, v30
	s_mov_b32 s41, 1
	v_cmp_lt_u32_e32 vcc, 1, v30
	v_cmp_ne_u32_e64 s[4:5], v30, v11
	v_mov_b32_e32 v28, 0
	s_mov_b64 s[34:35], 0
.LBB1_126:                              ;   Parent Loop BB1_94 Depth=1
                                        ;     Parent Loop BB1_124 Depth=2
                                        ; =>    This Loop Header: Depth=3
                                        ;         Child Loop BB1_128 Depth 4
                                        ;         Child Loop BB1_132 Depth 4
	;; [unrolled: 1-line block ×3, first 2 shown]
	v_subrev_u32_e32 v12, s41, v10
	s_mov_b64 s[6:7], -1
	v_mov_b32_e32 v13, 1
	v_mov_b32_e32 v14, 0
	s_and_saveexec_b64 s[36:37], vcc
	s_cbranch_execz .LBB1_130
; %bb.127:                              ;   in Loop: Header=BB1_126 Depth=3
	v_add_u32_e32 v13, -1, v12
	v_mov_b32_e32 v32, 1
	s_mov_b64 s[38:39], 0
	v_mov_b32_e32 v33, v31
	v_mov_b64_e32 v[14:15], v[12:13]
	v_mov_b32_e32 v13, 1
.LBB1_128:                              ;   Parent Loop BB1_94 Depth=1
                                        ;     Parent Loop BB1_124 Depth=2
                                        ;       Parent Loop BB1_126 Depth=3
                                        ; =>      This Inner Loop Header: Depth=4
	v_add_u32_e32 v33, -2, v33
	v_cmp_eq_u32_e64 s[6:7], 0, v33
	v_mul_lo_u32 v13, v13, v15
	v_mul_lo_u32 v32, v32, v14
	v_add_u32_e32 v15, -2, v15
	s_or_b64 s[38:39], s[6:7], s[38:39]
	v_add_u32_e32 v14, -2, v14
	s_andn2_b64 exec, exec, s[38:39]
	s_cbranch_execnz .LBB1_128
; %bb.129:                              ;   in Loop: Header=BB1_126 Depth=3
	s_or_b64 exec, exec, s[38:39]
	v_sub_u32_e32 v12, v12, v11
	v_mul_lo_u32 v13, v32, v13
	s_orn2_b64 s[6:7], s[4:5], exec
	v_mov_b32_e32 v14, v11
.LBB1_130:                              ;   in Loop: Header=BB1_126 Depth=3
	s_or_b64 exec, exec, s[36:37]
	s_and_saveexec_b64 s[36:37], s[6:7]
	s_cbranch_execz .LBB1_134
; %bb.131:                              ;   in Loop: Header=BB1_126 Depth=3
	s_mov_b64 s[38:39], 0
.LBB1_132:                              ;   Parent Loop BB1_94 Depth=1
                                        ;     Parent Loop BB1_124 Depth=2
                                        ;       Parent Loop BB1_126 Depth=3
                                        ; =>      This Inner Loop Header: Depth=4
	v_add_u32_e32 v14, 1, v14
	v_cmp_eq_u32_e64 s[6:7], v27, v14
	v_mul_lo_u32 v13, v13, v12
	s_or_b64 s[38:39], s[6:7], s[38:39]
	v_add_u32_e32 v12, -1, v12
	s_andn2_b64 exec, exec, s[38:39]
	s_cbranch_execnz .LBB1_132
; %bb.133:                              ;   in Loop: Header=BB1_126 Depth=3
	s_or_b64 exec, exec, s[38:39]
.LBB1_134:                              ;   in Loop: Header=BB1_126 Depth=3
	s_or_b64 exec, exec, s[36:37]
	s_mov_b64 s[36:37], 0
	v_mov_b32_e32 v12, v23
.LBB1_135:                              ;   Parent Loop BB1_94 Depth=1
                                        ;     Parent Loop BB1_124 Depth=2
                                        ;       Parent Loop BB1_126 Depth=3
                                        ; =>      This Inner Loop Header: Depth=4
	v_sub_u32_e32 v15, 0, v13
	v_sub_u32_e32 v32, 0, v12
	v_xor_b32_e32 v14, v13, v12
	v_max_i32_e32 v13, v13, v15
	v_max_i32_e32 v15, v12, v32
	v_cvt_f32_u32_e32 v32, v15
	v_sub_u32_e32 v33, 0, v15
	v_add_u32_e32 v12, -1, v12
	v_cmp_eq_u32_e64 s[6:7], 0, v12
	v_rcp_iflag_f32_e32 v32, v32
	s_or_b64 s[36:37], s[6:7], s[36:37]
	v_ashrrev_i32_e32 v14, 31, v14
	v_mul_f32_e32 v32, 0x4f7ffffe, v32
	v_cvt_u32_f32_e32 v32, v32
	v_mul_lo_u32 v33, v33, v32
	v_mul_hi_u32 v33, v32, v33
	v_add_u32_e32 v32, v32, v33
	v_mul_hi_u32 v32, v13, v32
	v_mul_lo_u32 v33, v32, v15
	v_sub_u32_e32 v13, v13, v33
	v_add_u32_e32 v34, 1, v32
	v_cmp_ge_u32_e64 s[6:7], v13, v15
	v_sub_u32_e32 v33, v13, v15
	s_nop 0
	v_cndmask_b32_e64 v32, v32, v34, s[6:7]
	v_cndmask_b32_e64 v13, v13, v33, s[6:7]
	v_add_u32_e32 v33, 1, v32
	v_cmp_ge_u32_e64 s[6:7], v13, v15
	s_nop 1
	v_cndmask_b32_e64 v13, v32, v33, s[6:7]
	v_xor_b32_e32 v13, v13, v14
	v_sub_u32_e32 v13, v13, v14
	s_andn2_b64 exec, exec, s[36:37]
	s_cbranch_execnz .LBB1_135
; %bb.136:                              ;   in Loop: Header=BB1_126 Depth=3
	s_or_b64 exec, exec, s[36:37]
	v_add_u32_e32 v28, v13, v28
	s_add_i32 s36, s41, 1
	v_cmp_ge_i32_e64 s[6:7], v28, v25
	s_or_b64 s[34:35], s[6:7], s[34:35]
	v_mov_b32_e32 v14, s41
	s_mov_b32 s41, s36
	s_andn2_b64 exec, exec, s[34:35]
	s_cbranch_execnz .LBB1_126
; %bb.137:                              ;   in Loop: Header=BB1_124 Depth=2
	s_or_b64 exec, exec, s[34:35]
.LBB1_138:                              ;   in Loop: Header=BB1_124 Depth=2
	s_or_b64 exec, exec, s[30:31]
	v_sub_u32_e32 v10, v10, v14
	v_mov_b32_e32 v11, 1
	v_cmp_lt_u32_e32 vcc, 1, v30
	s_mov_b64 s[6:7], -1
	v_mov_b32_e32 v13, 0
	v_mov_b32_e32 v12, v10
	s_and_saveexec_b64 s[4:5], vcc
	s_cbranch_execz .LBB1_142
; %bb.139:                              ;   in Loop: Header=BB1_124 Depth=2
	v_add_u32_e32 v11, -1, v10
	v_mov_b32_e32 v15, 1
	s_mov_b64 s[6:7], 0
	v_mov_b64_e32 v[12:13], v[10:11]
	v_mov_b32_e32 v11, 1
.LBB1_140:                              ;   Parent Loop BB1_94 Depth=1
                                        ;     Parent Loop BB1_124 Depth=2
                                        ; =>    This Inner Loop Header: Depth=3
	v_add_u32_e32 v31, -2, v31
	v_cmp_eq_u32_e32 vcc, 0, v31
	v_mul_lo_u32 v11, v11, v13
	v_mul_lo_u32 v15, v15, v12
	v_add_u32_e32 v13, -2, v13
	s_or_b64 s[6:7], vcc, s[6:7]
	v_add_u32_e32 v12, -2, v12
	s_andn2_b64 exec, exec, s[6:7]
	s_cbranch_execnz .LBB1_140
; %bb.141:                              ;   in Loop: Header=BB1_124 Depth=2
	s_or_b64 exec, exec, s[6:7]
	v_cmp_ne_u32_e32 vcc, v30, v29
	v_sub_u32_e32 v12, v10, v29
	v_mul_lo_u32 v11, v15, v11
	s_orn2_b64 s[6:7], vcc, exec
	v_mov_b32_e32 v13, v29
.LBB1_142:                              ;   in Loop: Header=BB1_124 Depth=2
	s_or_b64 exec, exec, s[4:5]
	s_and_saveexec_b64 s[4:5], s[6:7]
	s_cbranch_execz .LBB1_146
; %bb.143:                              ;   in Loop: Header=BB1_124 Depth=2
	s_mov_b64 s[6:7], 0
.LBB1_144:                              ;   Parent Loop BB1_94 Depth=1
                                        ;     Parent Loop BB1_124 Depth=2
                                        ; =>    This Inner Loop Header: Depth=3
	v_add_u32_e32 v13, 1, v13
	v_cmp_eq_u32_e32 vcc, v27, v13
	v_mul_lo_u32 v11, v11, v12
	s_or_b64 s[6:7], vcc, s[6:7]
	v_add_u32_e32 v12, -1, v12
	s_andn2_b64 exec, exec, s[6:7]
	s_cbranch_execnz .LBB1_144
; %bb.145:                              ;   in Loop: Header=BB1_124 Depth=2
	s_or_b64 exec, exec, s[6:7]
.LBB1_146:                              ;   in Loop: Header=BB1_124 Depth=2
	s_or_b64 exec, exec, s[4:5]
	s_mov_b64 s[4:5], 0
	v_mov_b32_e32 v12, v23
.LBB1_147:                              ;   Parent Loop BB1_94 Depth=1
                                        ;     Parent Loop BB1_124 Depth=2
                                        ; =>    This Inner Loop Header: Depth=3
	v_sub_u32_e32 v15, 0, v11
	v_sub_u32_e32 v29, 0, v12
	v_xor_b32_e32 v13, v11, v12
	v_max_i32_e32 v11, v11, v15
	v_max_i32_e32 v15, v12, v29
	v_cvt_f32_u32_e32 v29, v15
	v_sub_u32_e32 v30, 0, v15
	v_add_u32_e32 v12, -1, v12
	v_cmp_eq_u32_e32 vcc, 0, v12
	v_rcp_iflag_f32_e32 v29, v29
	s_or_b64 s[4:5], vcc, s[4:5]
	v_ashrrev_i32_e32 v13, 31, v13
	v_mul_f32_e32 v29, 0x4f7ffffe, v29
	v_cvt_u32_f32_e32 v29, v29
	v_mul_lo_u32 v30, v30, v29
	v_mul_hi_u32 v30, v29, v30
	v_add_u32_e32 v29, v29, v30
	v_mul_hi_u32 v29, v11, v29
	v_mul_lo_u32 v30, v29, v15
	v_sub_u32_e32 v11, v11, v30
	v_add_u32_e32 v31, 1, v29
	v_cmp_ge_u32_e32 vcc, v11, v15
	v_sub_u32_e32 v30, v11, v15
	s_nop 0
	v_cndmask_b32_e32 v29, v29, v31, vcc
	v_cndmask_b32_e32 v11, v11, v30, vcc
	v_add_u32_e32 v30, 1, v29
	v_cmp_ge_u32_e32 vcc, v11, v15
	s_nop 1
	v_cndmask_b32_e32 v11, v29, v30, vcc
	v_xor_b32_e32 v11, v11, v13
	v_sub_u32_e32 v11, v11, v13
	s_andn2_b64 exec, exec, s[4:5]
	s_cbranch_execnz .LBB1_147
; %bb.148:                              ;   in Loop: Header=BB1_124 Depth=2
	s_or_b64 exec, exec, s[4:5]
	s_add_i32 s4, s40, 1
	s_lshl_b32 s5, s40, 2
	v_sub_u32_e32 v12, v25, v28
	s_addk_i32 s5, 0xc0
	v_cmp_eq_u32_e32 vcc, s4, v24
	v_add_u32_e32 v25, v11, v12
	v_add_u32_e32 v26, v14, v26
	v_add_u32_e32 v27, -1, v27
	s_or_b64 s[28:29], vcc, s[28:29]
	s_mov_b32 s40, s4
	scratch_store_dword off, v26, s5
	s_andn2_b64 exec, exec, s[28:29]
	s_cbranch_execnz .LBB1_124
; %bb.149:                              ;   in Loop: Header=BB1_94 Depth=1
	s_or_b64 exec, exec, s[28:29]
.LBB1_150:                              ;   in Loop: Header=BB1_94 Depth=1
	s_or_b64 exec, exec, s[26:27]
	v_add_u32_e32 v10, v26, v25
	v_lshl_add_u32 v11, v24, 2, v22
	v_cmp_gt_u32_e32 vcc, 3, v24
	scratch_store_dword v11, v10, off
	s_and_saveexec_b64 s[6:7], vcc
	s_cbranch_execz .LBB1_157
; %bb.151:                              ;   in Loop: Header=BB1_94 Depth=1
	v_max_i32_e32 v12, 2, v1
	v_sub_u32_e32 v1, 6, v12
	v_sub_u32_e32 v10, 4, v12
	v_and_b32_e32 v11, -2, v1
	v_mov_b32_e32 v1, v10
	v_lshl_add_u32 v12, v12, 2, s11
	s_mov_b32 s26, 0
	s_mov_b64 s[28:29], 0
	s_branch .LBB1_153
.LBB1_152:                              ;   in Loop: Header=BB1_153 Depth=2
	s_or_b64 exec, exec, s[4:5]
	s_add_i32 s26, s26, 2
	v_cmp_eq_u32_e32 vcc, s26, v11
	s_or_b64 s[28:29], vcc, s[28:29]
	v_add_u32_e32 v12, 8, v12
	s_andn2_b64 exec, exec, s[28:29]
	s_cbranch_execz .LBB1_157
.LBB1_153:                              ;   Parent Loop BB1_94 Depth=1
                                        ; =>  This Inner Loop Header: Depth=2
	s_mov_b32 s27, s26
	s_or_b64 s[4:5], s[26:27], s[16:17]
	v_cmp_le_u32_e32 vcc, s5, v1
	v_cmp_le_u32_e64 s[4:5], s4, v10
	s_and_saveexec_b64 s[30:31], s[4:5]
	s_cbranch_execz .LBB1_155
; %bb.154:                              ;   in Loop: Header=BB1_153 Depth=2
	scratch_store_dword v12, v6, off
.LBB1_155:                              ;   in Loop: Header=BB1_153 Depth=2
	s_or_b64 exec, exec, s[30:31]
	s_and_saveexec_b64 s[4:5], vcc
	s_cbranch_execz .LBB1_152
; %bb.156:                              ;   in Loop: Header=BB1_153 Depth=2
	v_add_u32_e32 v13, 4, v12
	scratch_store_dword v13, v6, off
	s_branch .LBB1_152
.LBB1_157:                              ;   in Loop: Header=BB1_94 Depth=1
	s_or_b64 exec, exec, s[6:7]
.LBB1_158:                              ;   in Loop: Header=BB1_94 Depth=1
	s_andn2_saveexec_b64 s[4:5], s[24:25]
	s_cbranch_execz .LBB1_160
; %bb.159:                              ;   in Loop: Header=BB1_94 Depth=1
	scratch_store_dwordx4 off, v[6:9], off offset:192
.LBB1_160:                              ;   in Loop: Header=BB1_94 Depth=1
	s_or_b64 exec, exec, s[4:5]
	scratch_load_dword v10, off, off offset:192
                                        ; implicit-def: $vgpr1
	s_waitcnt vmcnt(0)
	v_cmp_lt_i32_e32 vcc, -1, v10
	s_and_saveexec_b64 s[4:5], vcc
	s_xor_b64 s[24:25], exec, s[4:5]
	s_cbranch_execz .LBB1_200
; %bb.161:                              ;   in Loop: Header=BB1_94 Depth=1
	v_lshlrev_b32_e32 v1, 2, v10
	scratch_load_dword v10, off, off offset:196
	scratch_load_dword v11, v1, off
	v_mov_b32_e32 v1, 1
	v_mov_b32_e32 v23, v18
	s_waitcnt vmcnt(1)
	v_cmp_lt_i32_e64 s[4:5], -1, v10
	s_waitcnt vmcnt(0)
	v_cmp_ge_i32_e32 vcc, s14, v11
	s_nop 1
	v_addc_co_u32_e32 v11, vcc, 0, v11, vcc
	scratch_store_dword off, v11, off offset:192
	s_and_saveexec_b64 s[26:27], s[4:5]
	s_cbranch_execz .LBB1_167
; %bb.162:                              ;   in Loop: Header=BB1_94 Depth=1
	v_lshlrev_b32_e32 v1, 2, v10
	scratch_load_dword v10, off, off offset:200
	scratch_load_dword v11, v1, off
	v_mov_b32_e32 v1, 2
	v_mov_b32_e32 v23, v19
	s_waitcnt vmcnt(1)
	v_cmp_lt_i32_e32 vcc, -1, v10
	s_waitcnt vmcnt(0)
	v_cmp_ge_i32_e64 s[6:7], s14, v11
	s_nop 1
	v_addc_co_u32_e64 v11, s[6:7], 0, v11, s[6:7]
	scratch_store_dword off, v11, off offset:196
	s_and_saveexec_b64 s[28:29], vcc
	s_cbranch_execz .LBB1_166
; %bb.163:                              ;   in Loop: Header=BB1_94 Depth=1
	v_lshlrev_b32_e32 v1, 2, v10
	scratch_load_dword v10, off, off offset:204
	scratch_load_dword v11, v1, off
	v_mov_b32_e32 v1, 3
	v_mov_b32_e32 v23, v20
	s_waitcnt vmcnt(1)
	v_cmp_lt_i32_e32 vcc, -1, v10
	s_waitcnt vmcnt(0)
	v_cmp_ge_i32_e64 s[6:7], s14, v11
	s_nop 1
	v_addc_co_u32_e64 v11, s[6:7], 0, v11, s[6:7]
	scratch_store_dword off, v11, off offset:200
	s_and_saveexec_b64 s[6:7], vcc
	s_cbranch_execz .LBB1_165
; %bb.164:                              ;   in Loop: Header=BB1_94 Depth=1
	v_lshlrev_b32_e32 v1, 2, v10
	scratch_load_dword v10, v1, off
	v_mov_b32_e32 v1, 4
	v_mov_b32_e32 v23, v21
	s_waitcnt vmcnt(0)
	v_cmp_ge_i32_e32 vcc, s14, v10
	s_nop 1
	v_addc_co_u32_e32 v10, vcc, 0, v10, vcc
	scratch_store_dword off, v10, off offset:204
.LBB1_165:                              ;   in Loop: Header=BB1_94 Depth=1
	s_or_b64 exec, exec, s[6:7]
.LBB1_166:                              ;   in Loop: Header=BB1_94 Depth=1
	s_or_b64 exec, exec, s[28:29]
.LBB1_167:                              ;   in Loop: Header=BB1_94 Depth=1
	s_or_b64 exec, exec, s[26:27]
	v_add_u32_e32 v10, 1, v1
	v_lshl_add_u32 v11, v1, 2, s11
	s_mov_b64 s[6:7], 0
.LBB1_168:                              ;   Parent Loop BB1_94 Depth=1
                                        ; =>  This Inner Loop Header: Depth=2
	scratch_load_dword v12, v11, off
	v_add_u32_e32 v10, -1, v10
	v_cmp_gt_u32_e32 vcc, 2, v10
	v_add_u32_e32 v13, 4, v11
	v_add_u32_e32 v11, -4, v11
	s_or_b64 s[6:7], vcc, s[6:7]
	s_waitcnt vmcnt(0)
	scratch_store_dword v13, v12, off
	s_andn2_b64 exec, exec, s[6:7]
	s_cbranch_execnz .LBB1_168
; %bb.169:                              ;   in Loop: Header=BB1_94 Depth=1
	s_or_b64 exec, exec, s[6:7]
	v_mov_b32_e32 v24, 0
	scratch_store_dword off, v24, off offset:192
	s_and_saveexec_b64 s[6:7], s[4:5]
	s_cbranch_execz .LBB1_181
; %bb.170:                              ;   in Loop: Header=BB1_94 Depth=1
	s_mov_b32 s30, 1
	s_mov_b32 s31, 0
	s_mov_b64 s[26:27], 0
.LBB1_171:                              ;   Parent Loop BB1_94 Depth=1
                                        ; =>  This Loop Header: Depth=2
                                        ;       Child Loop BB1_173 Depth 3
                                        ;       Child Loop BB1_176 Depth 3
	;; [unrolled: 1-line block ×3, first 2 shown]
	s_cmp_lt_u32 s30, 4
	s_cbranch_scc1 .LBB1_175
; %bb.172:                              ;   in Loop: Header=BB1_171 Depth=2
	s_and_b32 s29, s30, -4
	s_mov_b32 s28, 1
	s_mov_b32 s34, 43
	;; [unrolled: 1-line block ×6, first 2 shown]
.LBB1_173:                              ;   Parent Loop BB1_94 Depth=1
                                        ;     Parent Loop BB1_171 Depth=2
                                        ; =>    This Inner Loop Header: Depth=3
	s_add_i32 s36, s35, -2
	s_add_i32 s40, s34, -2
	s_mul_i32 s37, s37, s34
	s_mul_i32 s28, s28, s35
	s_add_i32 s35, s35, -4
	s_add_i32 s34, s34, -4
	;; [unrolled: 1-line block ×3, first 2 shown]
	s_mul_i32 s39, s39, s40
	s_cmp_lg_u32 s29, 0
	s_mul_i32 s38, s38, s36
	s_cbranch_scc1 .LBB1_173
; %bb.174:                              ;   in Loop: Header=BB1_171 Depth=2
	s_and_b32 s36, s30, 0x7ffffffc
	s_sub_i32 s35, 44, s36
	s_mul_i32 s29, s39, s37
	s_mul_i32 s28, s38, s28
	s_cmp_lg_u32 s30, s36
	s_mul_i32 s34, s28, s29
	s_cselect_b64 s[28:29], -1, 0
	s_and_b64 vcc, exec, s[28:29]
	s_cbranch_vccnz .LBB1_176
	s_branch .LBB1_177
.LBB1_175:                              ;   in Loop: Header=BB1_171 Depth=2
	s_mov_b32 s35, 44
	s_mov_b32 s36, 0
	;; [unrolled: 1-line block ×3, first 2 shown]
	s_cbranch_execz .LBB1_177
.LBB1_176:                              ;   Parent Loop BB1_94 Depth=1
                                        ;     Parent Loop BB1_171 Depth=2
                                        ; =>    This Inner Loop Header: Depth=3
	s_mul_i32 s34, s34, s35
	s_add_i32 s35, s35, -1
	s_add_i32 s36, s36, 1
	s_cmp_lg_u32 s30, s36
	s_cbranch_scc1 .LBB1_176
.LBB1_177:                              ;   in Loop: Header=BB1_171 Depth=2
	s_mov_b32 s28, s30
.LBB1_178:                              ;   Parent Loop BB1_94 Depth=1
                                        ;     Parent Loop BB1_171 Depth=2
                                        ; =>    This Inner Loop Header: Depth=3
	s_abs_i32 s35, s28
	v_cvt_f32_u32_e32 v10, s35
	s_sub_i32 s36, 0, s35
	s_xor_b32 s29, s34, s28
	s_abs_i32 s34, s34
	v_rcp_iflag_f32_e32 v10, v10
	s_ashr_i32 s29, s29, 31
	v_mul_f32_e32 v10, 0x4f7ffffe, v10
	v_cvt_u32_f32_e32 v10, v10
	s_nop 0
	v_readfirstlane_b32 s37, v10
	s_mul_i32 s36, s36, s37
	s_mul_hi_u32 s36, s37, s36
	s_add_i32 s37, s37, s36
	s_mul_hi_u32 s36, s34, s37
	s_mul_i32 s37, s36, s35
	s_sub_i32 s34, s34, s37
	s_add_i32 s38, s36, 1
	s_sub_i32 s37, s34, s35
	s_cmp_ge_u32 s34, s35
	s_cselect_b32 s36, s38, s36
	s_cselect_b32 s34, s37, s34
	s_add_i32 s37, s36, 1
	s_cmp_ge_u32 s34, s35
	s_cselect_b32 s34, s37, s36
	s_xor_b32 s34, s34, s29
	s_add_i32 s28, s28, -1
	s_sub_i32 s34, s34, s29
	s_cmp_lg_u32 s28, 0
	s_cbranch_scc1 .LBB1_178
; %bb.179:                              ;   in Loop: Header=BB1_171 Depth=2
	s_add_i32 s30, s30, 1
	s_add_i32 s31, s34, s31
	v_cmp_eq_u32_e32 vcc, s30, v1
	s_or_b64 s[26:27], vcc, s[26:27]
	v_mov_b32_e32 v24, s31
	s_andn2_b64 exec, exec, s[26:27]
	s_cbranch_execnz .LBB1_171
; %bb.180:                              ;   in Loop: Header=BB1_94 Depth=1
	s_or_b64 exec, exec, s[26:27]
.LBB1_181:                              ;   in Loop: Header=BB1_94 Depth=1
	s_or_b64 exec, exec, s[6:7]
	s_and_saveexec_b64 s[26:27], s[4:5]
	s_cbranch_execz .LBB1_199
; %bb.182:                              ;   in Loop: Header=BB1_94 Depth=1
	v_add_u32_e32 v25, -1, v1
	s_mov_b32 s40, 1
	s_mov_b32 s41, 0
	s_mov_b64 s[28:29], 0
	s_branch .LBB1_184
.LBB1_183:                              ;   in Loop: Header=BB1_184 Depth=2
	s_or_b64 exec, exec, s[30:31]
	s_add_i32 s40, s40, 1
	s_add_i32 s41, s41, 1
	v_cmp_eq_u32_e32 vcc, s40, v1
	s_or_b64 s[28:29], vcc, s[28:29]
	v_add_u32_e32 v25, -1, v25
	s_andn2_b64 exec, exec, s[28:29]
	s_cbranch_execz .LBB1_198
.LBB1_184:                              ;   Parent Loop BB1_94 Depth=1
                                        ; =>  This Loop Header: Depth=2
                                        ;       Child Loop BB1_186 Depth 3
                                        ;         Child Loop BB1_188 Depth 4
                                        ;         Child Loop BB1_192 Depth 4
	;; [unrolled: 1-line block ×3, first 2 shown]
	s_lshl_b32 s4, s40, 2
	s_addk_i32 s4, 0xc0
	s_add_i32 s4, s4, -4
	scratch_load_dwordx2 v[10:11], off, s4
	s_waitcnt vmcnt(0)
	v_add_u32_e32 v11, -1, v11
	v_cmp_lt_i32_e32 vcc, v10, v11
	s_and_saveexec_b64 s[30:31], vcc
	s_cbranch_execz .LBB1_183
; %bb.185:                              ;   in Loop: Header=BB1_184 Depth=2
	v_xad_u32 v12, s41, -1, v1
	v_and_b32_e32 v28, -2, v12
	v_and_b32_e32 v26, -2, v25
	v_subrev_u32_e32 v27, s40, v1
	v_cmp_lt_u32_e32 vcc, 1, v12
	v_cmp_ne_u32_e64 s[4:5], v12, v28
	s_mov_b64 s[34:35], 0
.LBB1_186:                              ;   Parent Loop BB1_94 Depth=1
                                        ;     Parent Loop BB1_184 Depth=2
                                        ; =>    This Loop Header: Depth=3
                                        ;         Child Loop BB1_188 Depth 4
                                        ;         Child Loop BB1_192 Depth 4
	;; [unrolled: 1-line block ×3, first 2 shown]
	v_sub_u32_e32 v12, 43, v10
	s_mov_b64 s[6:7], -1
	v_mov_b32_e32 v13, 1
	v_mov_b32_e32 v14, 0
	s_and_saveexec_b64 s[36:37], vcc
	s_cbranch_execz .LBB1_190
; %bb.187:                              ;   in Loop: Header=BB1_186 Depth=3
	v_add_u32_e32 v13, -1, v12
	v_mov_b32_e32 v29, 1
	s_mov_b64 s[38:39], 0
	v_mov_b32_e32 v30, v26
	v_mov_b64_e32 v[14:15], v[12:13]
	v_mov_b32_e32 v13, 1
.LBB1_188:                              ;   Parent Loop BB1_94 Depth=1
                                        ;     Parent Loop BB1_184 Depth=2
                                        ;       Parent Loop BB1_186 Depth=3
                                        ; =>      This Inner Loop Header: Depth=4
	v_add_u32_e32 v30, -2, v30
	v_cmp_eq_u32_e64 s[6:7], 0, v30
	v_mul_lo_u32 v13, v13, v15
	v_mul_lo_u32 v29, v29, v14
	v_add_u32_e32 v15, -2, v15
	s_or_b64 s[38:39], s[6:7], s[38:39]
	v_add_u32_e32 v14, -2, v14
	s_andn2_b64 exec, exec, s[38:39]
	s_cbranch_execnz .LBB1_188
; %bb.189:                              ;   in Loop: Header=BB1_186 Depth=3
	s_or_b64 exec, exec, s[38:39]
	v_sub_u32_e32 v12, v12, v28
	v_mul_lo_u32 v13, v29, v13
	s_orn2_b64 s[6:7], s[4:5], exec
	v_mov_b32_e32 v14, v28
.LBB1_190:                              ;   in Loop: Header=BB1_186 Depth=3
	s_or_b64 exec, exec, s[36:37]
	s_and_saveexec_b64 s[36:37], s[6:7]
	s_cbranch_execz .LBB1_194
; %bb.191:                              ;   in Loop: Header=BB1_186 Depth=3
	s_mov_b64 s[38:39], 0
.LBB1_192:                              ;   Parent Loop BB1_94 Depth=1
                                        ;     Parent Loop BB1_184 Depth=2
                                        ;       Parent Loop BB1_186 Depth=3
                                        ; =>      This Inner Loop Header: Depth=4
	v_add_u32_e32 v14, 1, v14
	v_cmp_eq_u32_e64 s[6:7], v25, v14
	v_mul_lo_u32 v13, v13, v12
	s_or_b64 s[38:39], s[6:7], s[38:39]
	v_add_u32_e32 v12, -1, v12
	s_andn2_b64 exec, exec, s[38:39]
	s_cbranch_execnz .LBB1_192
; %bb.193:                              ;   in Loop: Header=BB1_186 Depth=3
	s_or_b64 exec, exec, s[38:39]
.LBB1_194:                              ;   in Loop: Header=BB1_186 Depth=3
	s_or_b64 exec, exec, s[36:37]
	s_mov_b64 s[36:37], 0
	v_mov_b32_e32 v12, v27
.LBB1_195:                              ;   Parent Loop BB1_94 Depth=1
                                        ;     Parent Loop BB1_184 Depth=2
                                        ;       Parent Loop BB1_186 Depth=3
                                        ; =>      This Inner Loop Header: Depth=4
	v_sub_u32_e32 v15, 0, v13
	v_sub_u32_e32 v29, 0, v12
	v_xor_b32_e32 v14, v13, v12
	v_max_i32_e32 v13, v13, v15
	v_max_i32_e32 v15, v12, v29
	v_cvt_f32_u32_e32 v29, v15
	v_sub_u32_e32 v30, 0, v15
	v_add_u32_e32 v12, -1, v12
	v_cmp_eq_u32_e64 s[6:7], 0, v12
	v_rcp_iflag_f32_e32 v29, v29
	s_or_b64 s[36:37], s[6:7], s[36:37]
	v_ashrrev_i32_e32 v14, 31, v14
	v_mul_f32_e32 v29, 0x4f7ffffe, v29
	v_cvt_u32_f32_e32 v29, v29
	v_mul_lo_u32 v30, v30, v29
	v_mul_hi_u32 v30, v29, v30
	v_add_u32_e32 v29, v29, v30
	v_mul_hi_u32 v29, v13, v29
	v_mul_lo_u32 v30, v29, v15
	v_sub_u32_e32 v13, v13, v30
	v_add_u32_e32 v31, 1, v29
	v_cmp_ge_u32_e64 s[6:7], v13, v15
	v_sub_u32_e32 v30, v13, v15
	s_nop 0
	v_cndmask_b32_e64 v29, v29, v31, s[6:7]
	v_cndmask_b32_e64 v13, v13, v30, s[6:7]
	v_add_u32_e32 v30, 1, v29
	v_cmp_ge_u32_e64 s[6:7], v13, v15
	s_nop 1
	v_cndmask_b32_e64 v13, v29, v30, s[6:7]
	v_xor_b32_e32 v13, v13, v14
	v_sub_u32_e32 v13, v13, v14
	s_andn2_b64 exec, exec, s[36:37]
	s_cbranch_execnz .LBB1_195
; %bb.196:                              ;   in Loop: Header=BB1_186 Depth=3
	s_or_b64 exec, exec, s[36:37]
	v_add_u32_e32 v10, 1, v10
	v_cmp_ge_i32_e64 s[6:7], v10, v11
	s_or_b64 s[34:35], s[6:7], s[34:35]
	v_add_u32_e32 v24, v13, v24
	s_andn2_b64 exec, exec, s[34:35]
	s_cbranch_execnz .LBB1_186
; %bb.197:                              ;   in Loop: Header=BB1_184 Depth=2
	s_or_b64 exec, exec, s[34:35]
	s_branch .LBB1_183
.LBB1_198:                              ;   in Loop: Header=BB1_94 Depth=1
	s_or_b64 exec, exec, s[28:29]
.LBB1_199:                              ;   in Loop: Header=BB1_94 Depth=1
	s_or_b64 exec, exec, s[26:27]
	v_add_u32_e32 v1, -4, v23
	scratch_load_dwordx2 v[10:11], v1, off
	s_waitcnt vmcnt(0)
	v_add_u32_e32 v1, v11, v24
	v_sub_u32_e32 v1, v1, v10
.LBB1_200:                              ;   in Loop: Header=BB1_94 Depth=1
	s_andn2_saveexec_b64 s[4:5], s[24:25]
	s_cbranch_execz .LBB1_92
; %bb.201:                              ;   in Loop: Header=BB1_94 Depth=1
	v_mov_b32_e32 v1, 0
	scratch_store_dword off, v1, off offset:192
	s_branch .LBB1_92
.LBB1_202:
	s_or_b64 exec, exec, s[18:19]
	s_branch .LBB1_204
.LBB1_203:
	v_mov_b32_e32 v16, 0xd8635fa9
	v_mov_b32_e32 v5, 0
	;; [unrolled: 1-line block ×5, first 2 shown]
.LBB1_204:
	v_cvt_f32_u32_e32 v1, v0
	s_movk_i32 s3, 0x80
	v_lshl_add_u32 v8, v0, 2, 0
	v_cmp_gt_u32_e32 vcc, s3, v0
	ds_write_b32 v8, v16
	s_waitcnt lgkmcnt(0)
	s_barrier
	s_and_saveexec_b64 s[10:11], vcc
	s_cbranch_execz .LBB1_209
; %bb.205:
	ds_read2st64_b32 v[6:7], v8 offset1:2
	s_mov_b64 s[8:9], -1
	s_waitcnt lgkmcnt(0)
	v_cmp_ngt_f32_e64 s[4:5], v7, v6
	v_cmp_ngt_f32_e64 s[6:7], 0, v7
	v_cmp_gt_f32_e32 vcc, 0, v7
	s_or_b64 s[6:7], s[6:7], s[4:5]
	s_mov_b64 s[4:5], 0
	s_and_saveexec_b64 s[12:13], s[6:7]
	s_cbranch_execnz .LBB1_252
; %bb.206:
	s_or_b64 exec, exec, s[12:13]
	v_mov_b32_e32 v6, v1
	s_and_saveexec_b64 s[6:7], s[8:9]
	s_cbranch_execnz .LBB1_257
.LBB1_207:
	s_or_b64 exec, exec, s[6:7]
	s_and_b64 exec, exec, s[4:5]
.LBB1_208:
	ds_write_b32 v8, v6 offset:512
.LBB1_209:
	s_or_b64 exec, exec, s[10:11]
	v_cmp_gt_u32_e32 vcc, 64, v0
	s_waitcnt lgkmcnt(0)
	s_barrier
	s_and_saveexec_b64 s[10:11], vcc
	s_cbranch_execz .LBB1_214
; %bb.210:
	ds_read2st64_b32 v[6:7], v8 offset1:1
	s_mov_b64 s[8:9], -1
	s_waitcnt lgkmcnt(0)
	v_cmp_ngt_f32_e64 s[4:5], v7, v6
	v_cmp_ngt_f32_e64 s[6:7], 0, v7
	v_cmp_gt_f32_e32 vcc, 0, v7
	s_or_b64 s[6:7], s[6:7], s[4:5]
	s_mov_b64 s[4:5], 0
	s_and_saveexec_b64 s[12:13], s[6:7]
	s_cbranch_execnz .LBB1_258
; %bb.211:
	s_or_b64 exec, exec, s[12:13]
	v_mov_b32_e32 v6, v1
	s_and_saveexec_b64 s[6:7], s[8:9]
	s_cbranch_execnz .LBB1_263
.LBB1_212:
	s_or_b64 exec, exec, s[6:7]
	s_and_b64 exec, exec, s[4:5]
.LBB1_213:
	ds_write_b32 v8, v6 offset:256
.LBB1_214:
	s_or_b64 exec, exec, s[10:11]
	v_cmp_gt_u32_e32 vcc, 32, v0
	s_waitcnt lgkmcnt(0)
	s_barrier
	s_and_saveexec_b64 s[10:11], vcc
	s_cbranch_execz .LBB1_219
; %bb.215:
	ds_read2_b32 v[6:7], v8 offset1:32
	s_mov_b64 s[8:9], -1
	s_waitcnt lgkmcnt(0)
	v_cmp_ngt_f32_e64 s[4:5], v7, v6
	v_cmp_ngt_f32_e64 s[6:7], 0, v7
	v_cmp_gt_f32_e32 vcc, 0, v7
	s_or_b64 s[6:7], s[6:7], s[4:5]
	s_mov_b64 s[4:5], 0
	s_and_saveexec_b64 s[12:13], s[6:7]
	s_cbranch_execnz .LBB1_264
; %bb.216:
	s_or_b64 exec, exec, s[12:13]
	v_mov_b32_e32 v6, v1
	s_and_saveexec_b64 s[6:7], s[8:9]
	s_cbranch_execnz .LBB1_269
.LBB1_217:
	s_or_b64 exec, exec, s[6:7]
	s_and_b64 exec, exec, s[4:5]
.LBB1_218:
	ds_write_b32 v8, v6 offset:128
.LBB1_219:
	s_or_b64 exec, exec, s[10:11]
	v_cmp_gt_u32_e32 vcc, 16, v0
	s_waitcnt lgkmcnt(0)
	s_barrier
	s_and_saveexec_b64 s[10:11], vcc
	s_cbranch_execz .LBB1_224
; %bb.220:
	ds_read2_b32 v[6:7], v8 offset1:16
	s_mov_b64 s[8:9], -1
	s_waitcnt lgkmcnt(0)
	v_cmp_ngt_f32_e64 s[4:5], v7, v6
	v_cmp_ngt_f32_e64 s[6:7], 0, v7
	v_cmp_gt_f32_e32 vcc, 0, v7
	s_or_b64 s[6:7], s[6:7], s[4:5]
	s_mov_b64 s[4:5], 0
	s_and_saveexec_b64 s[12:13], s[6:7]
	s_cbranch_execnz .LBB1_270
; %bb.221:
	s_or_b64 exec, exec, s[12:13]
	v_mov_b32_e32 v6, v1
	s_and_saveexec_b64 s[6:7], s[8:9]
	s_cbranch_execnz .LBB1_275
.LBB1_222:
	s_or_b64 exec, exec, s[6:7]
	s_and_b64 exec, exec, s[4:5]
.LBB1_223:
	ds_write_b32 v8, v6 offset:64
.LBB1_224:
	s_or_b64 exec, exec, s[10:11]
	v_cmp_gt_u32_e32 vcc, 8, v0
	s_waitcnt lgkmcnt(0)
	s_barrier
	s_and_saveexec_b64 s[10:11], vcc
	s_cbranch_execz .LBB1_229
; %bb.225:
	ds_read2_b32 v[6:7], v8 offset1:8
	s_mov_b64 s[8:9], -1
	s_waitcnt lgkmcnt(0)
	v_cmp_ngt_f32_e64 s[4:5], v7, v6
	v_cmp_ngt_f32_e64 s[6:7], 0, v7
	v_cmp_gt_f32_e32 vcc, 0, v7
	s_or_b64 s[6:7], s[6:7], s[4:5]
	s_mov_b64 s[4:5], 0
	s_and_saveexec_b64 s[12:13], s[6:7]
	s_cbranch_execnz .LBB1_276
; %bb.226:
	s_or_b64 exec, exec, s[12:13]
	v_mov_b32_e32 v6, v1
	s_and_saveexec_b64 s[6:7], s[8:9]
	s_cbranch_execnz .LBB1_281
.LBB1_227:
	s_or_b64 exec, exec, s[6:7]
	s_and_b64 exec, exec, s[4:5]
.LBB1_228:
	ds_write_b32 v8, v6 offset:32
.LBB1_229:
	s_or_b64 exec, exec, s[10:11]
	v_cmp_gt_u32_e32 vcc, 4, v0
	s_waitcnt lgkmcnt(0)
	s_barrier
	s_and_saveexec_b64 s[10:11], vcc
	s_cbranch_execz .LBB1_234
; %bb.230:
	ds_read2_b32 v[6:7], v8 offset1:4
	s_mov_b64 s[8:9], -1
	s_waitcnt lgkmcnt(0)
	v_cmp_ngt_f32_e64 s[4:5], v7, v6
	v_cmp_ngt_f32_e64 s[6:7], 0, v7
	v_cmp_gt_f32_e32 vcc, 0, v7
	s_or_b64 s[6:7], s[6:7], s[4:5]
	s_mov_b64 s[4:5], 0
	s_and_saveexec_b64 s[12:13], s[6:7]
	s_cbranch_execnz .LBB1_282
; %bb.231:
	s_or_b64 exec, exec, s[12:13]
	v_mov_b32_e32 v6, v1
	s_and_saveexec_b64 s[6:7], s[8:9]
	s_cbranch_execnz .LBB1_287
.LBB1_232:
	s_or_b64 exec, exec, s[6:7]
	s_and_b64 exec, exec, s[4:5]
.LBB1_233:
	ds_write_b32 v8, v6 offset:16
.LBB1_234:
	s_or_b64 exec, exec, s[10:11]
	v_cmp_gt_u32_e32 vcc, 2, v0
	s_waitcnt lgkmcnt(0)
	s_barrier
	s_and_saveexec_b64 s[10:11], vcc
	s_cbranch_execz .LBB1_239
; %bb.235:
	ds_read2_b32 v[6:7], v8 offset1:2
	s_mov_b64 s[8:9], -1
	s_waitcnt lgkmcnt(0)
	v_cmp_ngt_f32_e64 s[4:5], v7, v6
	v_cmp_ngt_f32_e64 s[6:7], 0, v7
	v_cmp_gt_f32_e32 vcc, 0, v7
	s_or_b64 s[6:7], s[6:7], s[4:5]
	s_mov_b64 s[4:5], 0
	s_and_saveexec_b64 s[12:13], s[6:7]
	s_cbranch_execnz .LBB1_288
; %bb.236:
	s_or_b64 exec, exec, s[12:13]
	v_mov_b32_e32 v6, v1
	s_and_saveexec_b64 s[6:7], s[8:9]
	s_cbranch_execnz .LBB1_293
.LBB1_237:
	s_or_b64 exec, exec, s[6:7]
	s_and_b64 exec, exec, s[4:5]
.LBB1_238:
	ds_write_b32 v8, v6 offset:8
.LBB1_239:
	s_or_b64 exec, exec, s[10:11]
	v_cmp_eq_u32_e32 vcc, 0, v0
	s_waitcnt lgkmcnt(0)
	s_barrier
	s_and_saveexec_b64 s[12:13], vcc
	s_cbranch_execz .LBB1_244
; %bb.240:
	v_mov_b32_e32 v6, 0
	ds_read_b32 v6, v6 offset:4
	ds_read_b32 v7, v8
	s_mov_b64 s[10:11], -1
	s_waitcnt lgkmcnt(1)
	v_cmp_ngt_f32_e64 s[8:9], 0, v6
	s_waitcnt lgkmcnt(0)
	v_cmp_ngt_f32_e64 s[6:7], v6, v7
	v_cmp_gt_f32_e64 s[4:5], 0, v6
	s_or_b64 s[8:9], s[8:9], s[6:7]
	s_mov_b64 s[6:7], 0
	s_and_saveexec_b64 s[14:15], s[8:9]
	s_cbranch_execnz .LBB1_294
; %bb.241:
	s_or_b64 exec, exec, s[14:15]
	s_and_saveexec_b64 s[4:5], s[10:11]
	s_cbranch_execnz .LBB1_299
.LBB1_242:
	s_or_b64 exec, exec, s[4:5]
	s_and_b64 exec, exec, s[6:7]
.LBB1_243:
	v_mov_b32_e32 v6, 0
	ds_write_b32 v6, v1 offset:4
.LBB1_244:
	s_or_b64 exec, exec, s[12:13]
	s_load_dwordx4 s[4:7], s[0:1], 0x20
	s_waitcnt lgkmcnt(0)
	s_barrier
	s_and_saveexec_b64 s[0:1], vcc
	s_cbranch_execz .LBB1_249
; %bb.245:
	v_mov_b32_e32 v8, 0
	ds_read2_b32 v[6:7], v8 offset1:1
	s_mov_b32 s3, 0
	s_lshl_b64 s[8:9], s[2:3], 2
	s_movk_i32 s3, 0x7f
	s_add_u32 s4, s4, s8
	s_waitcnt lgkmcnt(0)
	v_cvt_i32_f32_e32 v1, v7
	s_addc_u32 s5, s5, s9
	global_store_dword v8, v6, s[4:5]
	v_cmp_lt_u32_e32 vcc, s3, v1
	s_cbranch_vccnz .LBB1_248
; %bb.246:
	s_mov_b32 s10, 1
	s_mov_b32 s3, 0x3f317218
	s_mov_b32 s4, 0x7f800000
	v_mov_b32_e32 v6, 0x7f800000
	s_mov_b32 s5, 0x42b17218
	v_mov_b32_e32 v7, 0x37000000
	s_mov_b32 s8, 0x3fb8aa3b
	s_mov_b32 s9, 0xc2ce8ed0
	s_movk_i32 s11, 0x204
	s_movk_i32 s12, 0x80
.LBB1_247:                              ; =>This Inner Loop Header: Depth=1
	v_cvt_f32_u32_e32 v8, s10
	v_lshlrev_b32_e32 v1, 2, v1
	v_add_u32_e32 v1, 0, v1
	s_add_i32 s13, s10, 1
	v_mul_f32_e32 v9, 0x3f317218, v8
	v_fma_f32 v10, v8, s3, -v9
	v_fmac_f32_e32 v10, 0xb102e308, v8
	v_add_f32_e32 v8, v9, v10
	v_cmp_neq_f32_e32 vcc, s4, v9
	v_sub_f32_e32 v9, v8, v9
	v_sub_f32_e32 v9, v10, v9
	v_cndmask_b32_e32 v8, v6, v8, vcc
	v_cmp_eq_f32_e32 vcc, s5, v8
	s_cmp_lt_u32 s10, 6
	s_cselect_b64 s[14:15], -1, 0
	v_cndmask_b32_e32 v10, 0, v7, vcc
	v_cmp_neq_f32_e64 vcc, |v8|, s4
	v_sub_f32_e32 v8, v8, v10
	s_mov_b32 s10, s13
	v_cndmask_b32_e32 v9, 0, v9, vcc
	v_add_f32_e32 v9, v10, v9
	v_mul_f32_e32 v10, 0x3fb8aa3b, v8
	v_fma_f32 v11, v8, s8, -v10
	v_rndne_f32_e32 v12, v10
	v_fmac_f32_e32 v11, 0x32a5705f, v8
	v_sub_f32_e32 v10, v10, v12
	v_add_f32_e32 v10, v10, v11
	v_cvt_i32_f32_e32 v12, v12
	v_exp_f32_e32 v10, v10
	v_cmp_ngt_f32_e32 vcc, s9, v8
	v_ldexp_f32 v10, v10, v12
	s_nop 0
	v_cndmask_b32_e32 v10, 0, v10, vcc
	v_cmp_nlt_f32_e32 vcc, s5, v8
	s_nop 1
	v_cndmask_b32_e32 v8, v6, v10, vcc
	v_fma_f32 v9, v8, v9, v8
	v_cmp_class_f32_e64 vcc, v8, s11
	s_nop 1
	v_cndmask_b32_e32 v8, v9, v8, vcc
	v_cvt_i32_f32_e64 v8, |v8|
	v_lshlrev_b32_e32 v8, 2, v8
	v_add_u32_e32 v1, v1, v8
	ds_read_b32 v1, v1
	s_waitcnt lgkmcnt(0)
	v_cvt_i32_f32_e32 v1, v1
	v_cmp_gt_u32_e32 vcc, s12, v1
	s_and_b64 s[14:15], s[14:15], vcc
	s_and_b64 vcc, exec, s[14:15]
	s_cbranch_vccnz .LBB1_247
.LBB1_248:
	v_cvt_f32_i32_e32 v1, v1
	v_mov_b32_e32 v6, 0
	ds_write_b32 v6, v1
.LBB1_249:
	s_or_b64 exec, exec, s[0:1]
	v_mov_b32_e32 v1, 0
	s_waitcnt lgkmcnt(0)
	s_barrier
	ds_read_b32 v6, v1
	s_mov_b32 s1, 0
	s_waitcnt lgkmcnt(0)
	v_cvt_i32_f32_e32 v6, v6
	v_cmp_eq_u32_e32 vcc, v0, v6
	s_and_saveexec_b64 s[4:5], vcc
	s_cbranch_execz .LBB1_251
; %bb.250:
	s_lshl_b32 s0, s2, 2
	s_lshl_b64 s[0:1], s[0:1], 2
	s_add_u32 s0, s6, s0
	s_addc_u32 s1, s7, s1
	global_store_dwordx4 v1, v[2:5], s[0:1]
.LBB1_251:
	s_endpgm
.LBB1_252:
	v_cmp_nlt_f32_e64 s[6:7], v7, v6
	v_cmp_ngt_f32_e64 s[8:9], 0, v6
	v_cmp_gt_f32_e64 s[4:5], 0, v6
	s_or_b64 s[14:15], s[6:7], s[8:9]
	s_mov_b64 s[6:7], 0
	s_mov_b64 s[16:17], -1
	s_and_saveexec_b64 s[8:9], s[14:15]
	s_cbranch_execz .LBB1_256
; %bb.253:
	v_cmp_nlt_f32_e64 s[6:7], 0, v6
	s_xor_b64 s[16:17], vcc, -1
	s_mov_b64 s[14:15], -1
	s_or_b64 s[18:19], s[16:17], s[6:7]
	s_mov_b64 s[6:7], 0
	s_and_saveexec_b64 s[16:17], s[18:19]
; %bb.254:
	v_cmp_lt_f32_e32 vcc, 0, v7
	s_and_b64 s[4:5], vcc, s[4:5]
	s_and_b64 s[6:7], s[4:5], exec
	s_xor_b64 s[14:15], exec, -1
; %bb.255:
	s_or_b64 exec, exec, s[16:17]
	s_orn2_b64 s[16:17], s[6:7], exec
	s_and_b64 s[6:7], s[14:15], exec
.LBB1_256:
	s_or_b64 exec, exec, s[8:9]
	s_and_b64 s[4:5], s[16:17], exec
	s_orn2_b64 s[8:9], s[6:7], exec
	s_or_b64 exec, exec, s[12:13]
	v_mov_b32_e32 v6, v1
	s_and_saveexec_b64 s[6:7], s[8:9]
	s_cbranch_execz .LBB1_207
.LBB1_257:
	v_or_b32_e32 v6, 0x80, v0
	v_cvt_f32_u32_e32 v6, v6
	s_or_b64 s[4:5], s[4:5], exec
	ds_write_b32 v8, v7
	s_or_b64 exec, exec, s[6:7]
	s_and_b64 exec, exec, s[4:5]
	s_cbranch_execnz .LBB1_208
	s_branch .LBB1_209
.LBB1_258:
	v_cmp_nlt_f32_e64 s[6:7], v7, v6
	v_cmp_ngt_f32_e64 s[8:9], 0, v6
	v_cmp_gt_f32_e64 s[4:5], 0, v6
	s_or_b64 s[14:15], s[6:7], s[8:9]
	s_mov_b64 s[6:7], 0
	s_mov_b64 s[16:17], -1
	s_and_saveexec_b64 s[8:9], s[14:15]
	s_cbranch_execz .LBB1_262
; %bb.259:
	v_cmp_nlt_f32_e64 s[6:7], 0, v6
	s_xor_b64 s[16:17], vcc, -1
	s_mov_b64 s[14:15], -1
	s_or_b64 s[18:19], s[16:17], s[6:7]
	s_mov_b64 s[6:7], 0
	s_and_saveexec_b64 s[16:17], s[18:19]
; %bb.260:
	v_cmp_lt_f32_e32 vcc, 0, v7
	s_and_b64 s[4:5], vcc, s[4:5]
	s_and_b64 s[6:7], s[4:5], exec
	s_xor_b64 s[14:15], exec, -1
; %bb.261:
	s_or_b64 exec, exec, s[16:17]
	s_orn2_b64 s[16:17], s[6:7], exec
	s_and_b64 s[6:7], s[14:15], exec
.LBB1_262:
	s_or_b64 exec, exec, s[8:9]
	s_and_b64 s[4:5], s[16:17], exec
	s_orn2_b64 s[8:9], s[6:7], exec
	s_or_b64 exec, exec, s[12:13]
	v_mov_b32_e32 v6, v1
	s_and_saveexec_b64 s[6:7], s[8:9]
	s_cbranch_execz .LBB1_212
.LBB1_263:
	v_or_b32_e32 v6, 64, v0
	v_cvt_f32_u32_e32 v6, v6
	s_or_b64 s[4:5], s[4:5], exec
	ds_write_b32 v8, v7
	s_or_b64 exec, exec, s[6:7]
	s_and_b64 exec, exec, s[4:5]
	s_cbranch_execnz .LBB1_213
	s_branch .LBB1_214
.LBB1_264:
	v_cmp_nlt_f32_e64 s[6:7], v7, v6
	v_cmp_ngt_f32_e64 s[8:9], 0, v6
	v_cmp_gt_f32_e64 s[4:5], 0, v6
	s_or_b64 s[14:15], s[6:7], s[8:9]
	s_mov_b64 s[6:7], 0
	s_mov_b64 s[16:17], -1
	s_and_saveexec_b64 s[8:9], s[14:15]
	s_cbranch_execz .LBB1_268
; %bb.265:
	v_cmp_nlt_f32_e64 s[6:7], 0, v6
	s_xor_b64 s[16:17], vcc, -1
	s_mov_b64 s[14:15], -1
	s_or_b64 s[18:19], s[16:17], s[6:7]
	s_mov_b64 s[6:7], 0
	s_and_saveexec_b64 s[16:17], s[18:19]
; %bb.266:
	v_cmp_lt_f32_e32 vcc, 0, v7
	s_and_b64 s[4:5], vcc, s[4:5]
	s_and_b64 s[6:7], s[4:5], exec
	s_xor_b64 s[14:15], exec, -1
; %bb.267:
	s_or_b64 exec, exec, s[16:17]
	s_orn2_b64 s[16:17], s[6:7], exec
	s_and_b64 s[6:7], s[14:15], exec
.LBB1_268:
	s_or_b64 exec, exec, s[8:9]
	s_and_b64 s[4:5], s[16:17], exec
	s_orn2_b64 s[8:9], s[6:7], exec
	s_or_b64 exec, exec, s[12:13]
	v_mov_b32_e32 v6, v1
	s_and_saveexec_b64 s[6:7], s[8:9]
	s_cbranch_execz .LBB1_217
.LBB1_269:
	v_or_b32_e32 v6, 32, v0
	v_cvt_f32_u32_e32 v6, v6
	s_or_b64 s[4:5], s[4:5], exec
	ds_write_b32 v8, v7
	s_or_b64 exec, exec, s[6:7]
	s_and_b64 exec, exec, s[4:5]
	s_cbranch_execnz .LBB1_218
	s_branch .LBB1_219
.LBB1_270:
	v_cmp_nlt_f32_e64 s[6:7], v7, v6
	v_cmp_ngt_f32_e64 s[8:9], 0, v6
	v_cmp_gt_f32_e64 s[4:5], 0, v6
	s_or_b64 s[14:15], s[6:7], s[8:9]
	s_mov_b64 s[6:7], 0
	s_mov_b64 s[16:17], -1
	s_and_saveexec_b64 s[8:9], s[14:15]
	s_cbranch_execz .LBB1_274
; %bb.271:
	v_cmp_nlt_f32_e64 s[6:7], 0, v6
	s_xor_b64 s[16:17], vcc, -1
	s_mov_b64 s[14:15], -1
	s_or_b64 s[18:19], s[16:17], s[6:7]
	s_mov_b64 s[6:7], 0
	s_and_saveexec_b64 s[16:17], s[18:19]
; %bb.272:
	v_cmp_lt_f32_e32 vcc, 0, v7
	s_and_b64 s[4:5], vcc, s[4:5]
	s_and_b64 s[6:7], s[4:5], exec
	s_xor_b64 s[14:15], exec, -1
; %bb.273:
	s_or_b64 exec, exec, s[16:17]
	s_orn2_b64 s[16:17], s[6:7], exec
	s_and_b64 s[6:7], s[14:15], exec
.LBB1_274:
	s_or_b64 exec, exec, s[8:9]
	s_and_b64 s[4:5], s[16:17], exec
	s_orn2_b64 s[8:9], s[6:7], exec
	s_or_b64 exec, exec, s[12:13]
	v_mov_b32_e32 v6, v1
	s_and_saveexec_b64 s[6:7], s[8:9]
	s_cbranch_execz .LBB1_222
.LBB1_275:
	v_or_b32_e32 v6, 16, v0
	v_cvt_f32_u32_e32 v6, v6
	s_or_b64 s[4:5], s[4:5], exec
	ds_write_b32 v8, v7
	s_or_b64 exec, exec, s[6:7]
	s_and_b64 exec, exec, s[4:5]
	s_cbranch_execnz .LBB1_223
	s_branch .LBB1_224
.LBB1_276:
	v_cmp_nlt_f32_e64 s[6:7], v7, v6
	v_cmp_ngt_f32_e64 s[8:9], 0, v6
	v_cmp_gt_f32_e64 s[4:5], 0, v6
	s_or_b64 s[14:15], s[6:7], s[8:9]
	s_mov_b64 s[6:7], 0
	s_mov_b64 s[16:17], -1
	s_and_saveexec_b64 s[8:9], s[14:15]
	s_cbranch_execz .LBB1_280
; %bb.277:
	v_cmp_nlt_f32_e64 s[6:7], 0, v6
	s_xor_b64 s[16:17], vcc, -1
	s_mov_b64 s[14:15], -1
	s_or_b64 s[18:19], s[16:17], s[6:7]
	s_mov_b64 s[6:7], 0
	s_and_saveexec_b64 s[16:17], s[18:19]
; %bb.278:
	v_cmp_lt_f32_e32 vcc, 0, v7
	s_and_b64 s[4:5], vcc, s[4:5]
	s_and_b64 s[6:7], s[4:5], exec
	s_xor_b64 s[14:15], exec, -1
; %bb.279:
	s_or_b64 exec, exec, s[16:17]
	s_orn2_b64 s[16:17], s[6:7], exec
	s_and_b64 s[6:7], s[14:15], exec
.LBB1_280:
	s_or_b64 exec, exec, s[8:9]
	s_and_b64 s[4:5], s[16:17], exec
	s_orn2_b64 s[8:9], s[6:7], exec
	s_or_b64 exec, exec, s[12:13]
	v_mov_b32_e32 v6, v1
	s_and_saveexec_b64 s[6:7], s[8:9]
	s_cbranch_execz .LBB1_227
.LBB1_281:
	v_or_b32_e32 v6, 8, v0
	v_cvt_f32_u32_e32 v6, v6
	s_or_b64 s[4:5], s[4:5], exec
	ds_write_b32 v8, v7
	s_or_b64 exec, exec, s[6:7]
	s_and_b64 exec, exec, s[4:5]
	s_cbranch_execnz .LBB1_228
	s_branch .LBB1_229
.LBB1_282:
	v_cmp_nlt_f32_e64 s[6:7], v7, v6
	v_cmp_ngt_f32_e64 s[8:9], 0, v6
	v_cmp_gt_f32_e64 s[4:5], 0, v6
	s_or_b64 s[14:15], s[6:7], s[8:9]
	s_mov_b64 s[6:7], 0
	s_mov_b64 s[16:17], -1
	s_and_saveexec_b64 s[8:9], s[14:15]
	s_cbranch_execz .LBB1_286
; %bb.283:
	v_cmp_nlt_f32_e64 s[6:7], 0, v6
	s_xor_b64 s[16:17], vcc, -1
	s_mov_b64 s[14:15], -1
	s_or_b64 s[18:19], s[16:17], s[6:7]
	s_mov_b64 s[6:7], 0
	s_and_saveexec_b64 s[16:17], s[18:19]
; %bb.284:
	v_cmp_lt_f32_e32 vcc, 0, v7
	s_and_b64 s[4:5], vcc, s[4:5]
	s_and_b64 s[6:7], s[4:5], exec
	s_xor_b64 s[14:15], exec, -1
; %bb.285:
	s_or_b64 exec, exec, s[16:17]
	s_orn2_b64 s[16:17], s[6:7], exec
	s_and_b64 s[6:7], s[14:15], exec
.LBB1_286:
	s_or_b64 exec, exec, s[8:9]
	s_and_b64 s[4:5], s[16:17], exec
	s_orn2_b64 s[8:9], s[6:7], exec
	s_or_b64 exec, exec, s[12:13]
	v_mov_b32_e32 v6, v1
	s_and_saveexec_b64 s[6:7], s[8:9]
	s_cbranch_execz .LBB1_232
.LBB1_287:
	v_or_b32_e32 v6, 4, v0
	v_cvt_f32_u32_e32 v6, v6
	s_or_b64 s[4:5], s[4:5], exec
	ds_write_b32 v8, v7
	s_or_b64 exec, exec, s[6:7]
	s_and_b64 exec, exec, s[4:5]
	s_cbranch_execnz .LBB1_233
	s_branch .LBB1_234
.LBB1_288:
	v_cmp_nlt_f32_e64 s[6:7], v7, v6
	v_cmp_ngt_f32_e64 s[8:9], 0, v6
	v_cmp_gt_f32_e64 s[4:5], 0, v6
	s_or_b64 s[14:15], s[6:7], s[8:9]
	s_mov_b64 s[6:7], 0
	s_mov_b64 s[16:17], -1
	s_and_saveexec_b64 s[8:9], s[14:15]
	s_cbranch_execz .LBB1_292
; %bb.289:
	v_cmp_nlt_f32_e64 s[6:7], 0, v6
	s_xor_b64 s[16:17], vcc, -1
	s_mov_b64 s[14:15], -1
	s_or_b64 s[18:19], s[16:17], s[6:7]
	s_mov_b64 s[6:7], 0
	s_and_saveexec_b64 s[16:17], s[18:19]
; %bb.290:
	v_cmp_lt_f32_e32 vcc, 0, v7
	s_and_b64 s[4:5], vcc, s[4:5]
	s_and_b64 s[6:7], s[4:5], exec
	s_xor_b64 s[14:15], exec, -1
; %bb.291:
	s_or_b64 exec, exec, s[16:17]
	s_orn2_b64 s[16:17], s[6:7], exec
	s_and_b64 s[6:7], s[14:15], exec
.LBB1_292:
	s_or_b64 exec, exec, s[8:9]
	s_and_b64 s[4:5], s[16:17], exec
	s_orn2_b64 s[8:9], s[6:7], exec
	s_or_b64 exec, exec, s[12:13]
	v_mov_b32_e32 v6, v1
	s_and_saveexec_b64 s[6:7], s[8:9]
	s_cbranch_execz .LBB1_237
.LBB1_293:
	v_or_b32_e32 v6, 2, v0
	v_cvt_f32_u32_e32 v6, v6
	s_or_b64 s[4:5], s[4:5], exec
	ds_write_b32 v8, v7
	s_or_b64 exec, exec, s[6:7]
	s_and_b64 exec, exec, s[4:5]
	s_cbranch_execnz .LBB1_238
	s_branch .LBB1_239
.LBB1_294:
	v_cmp_nlt_f32_e64 s[8:9], v6, v7
	v_cmp_ngt_f32_e64 s[10:11], 0, v7
	v_cmp_gt_f32_e64 s[6:7], 0, v7
	s_or_b64 s[16:17], s[8:9], s[10:11]
	s_mov_b64 s[8:9], 0
	s_mov_b64 s[18:19], -1
	s_and_saveexec_b64 s[10:11], s[16:17]
	s_cbranch_execz .LBB1_298
; %bb.295:
	v_cmp_nlt_f32_e64 s[8:9], 0, v7
	s_xor_b64 s[4:5], s[4:5], -1
	s_mov_b64 s[16:17], -1
	s_or_b64 s[18:19], s[4:5], s[8:9]
	s_mov_b64 s[4:5], 0
	s_and_saveexec_b64 s[8:9], s[18:19]
; %bb.296:
	v_cmp_lt_f32_e64 s[4:5], 0, v6
	s_and_b64 s[4:5], s[4:5], s[6:7]
	s_and_b64 s[4:5], s[4:5], exec
	s_xor_b64 s[16:17], exec, -1
; %bb.297:
	s_or_b64 exec, exec, s[8:9]
	s_orn2_b64 s[18:19], s[4:5], exec
	s_and_b64 s[8:9], s[16:17], exec
.LBB1_298:
	s_or_b64 exec, exec, s[10:11]
	s_and_b64 s[6:7], s[18:19], exec
	s_orn2_b64 s[10:11], s[8:9], exec
	s_or_b64 exec, exec, s[14:15]
	s_and_saveexec_b64 s[4:5], s[10:11]
	s_cbranch_execz .LBB1_242
.LBB1_299:
	v_mov_b32_e32 v1, 1.0
	s_or_b64 s[6:7], s[6:7], exec
	ds_write_b32 v8, v6
	s_or_b64 exec, exec, s[4:5]
	s_and_b64 exec, exec, s[6:7]
	s_cbranch_execnz .LBB1_243
	s_branch .LBB1_244
	.section	.rodata,"a",@progbits
	.p2align	6, 0x0
	.amdhsa_kernel _Z13computeKerneliiPKfPKbiiPfPi
		.amdhsa_group_segment_fixed_size 0
		.amdhsa_private_segment_fixed_size 224
		.amdhsa_kernarg_size 48
		.amdhsa_user_sgpr_count 2
		.amdhsa_user_sgpr_dispatch_ptr 0
		.amdhsa_user_sgpr_queue_ptr 0
		.amdhsa_user_sgpr_kernarg_segment_ptr 1
		.amdhsa_user_sgpr_dispatch_id 0
		.amdhsa_user_sgpr_kernarg_preload_length 0
		.amdhsa_user_sgpr_kernarg_preload_offset 0
		.amdhsa_user_sgpr_private_segment_size 0
		.amdhsa_uses_dynamic_stack 0
		.amdhsa_enable_private_segment 1
		.amdhsa_system_sgpr_workgroup_id_x 1
		.amdhsa_system_sgpr_workgroup_id_y 0
		.amdhsa_system_sgpr_workgroup_id_z 0
		.amdhsa_system_sgpr_workgroup_info 0
		.amdhsa_system_vgpr_workitem_id 0
		.amdhsa_next_free_vgpr 35
		.amdhsa_next_free_sgpr 42
		.amdhsa_accum_offset 36
		.amdhsa_reserve_vcc 1
		.amdhsa_float_round_mode_32 0
		.amdhsa_float_round_mode_16_64 0
		.amdhsa_float_denorm_mode_32 3
		.amdhsa_float_denorm_mode_16_64 3
		.amdhsa_dx10_clamp 1
		.amdhsa_ieee_mode 1
		.amdhsa_fp16_overflow 0
		.amdhsa_tg_split 0
		.amdhsa_exception_fp_ieee_invalid_op 0
		.amdhsa_exception_fp_denorm_src 0
		.amdhsa_exception_fp_ieee_div_zero 0
		.amdhsa_exception_fp_ieee_overflow 0
		.amdhsa_exception_fp_ieee_underflow 0
		.amdhsa_exception_fp_ieee_inexact 0
		.amdhsa_exception_int_div_zero 0
	.end_amdhsa_kernel
	.text
.Lfunc_end1:
	.size	_Z13computeKerneliiPKfPKbiiPfPi, .Lfunc_end1-_Z13computeKerneliiPKfPKbiiPfPi
                                        ; -- End function
	.set _Z13computeKerneliiPKfPKbiiPfPi.num_vgpr, 35
	.set _Z13computeKerneliiPKfPKbiiPfPi.num_agpr, 0
	.set _Z13computeKerneliiPKfPKbiiPfPi.numbered_sgpr, 42
	.set _Z13computeKerneliiPKfPKbiiPfPi.num_named_barrier, 0
	.set _Z13computeKerneliiPKfPKbiiPfPi.private_seg_size, 224
	.set _Z13computeKerneliiPKfPKbiiPfPi.uses_vcc, 1
	.set _Z13computeKerneliiPKfPKbiiPfPi.uses_flat_scratch, 0
	.set _Z13computeKerneliiPKfPKbiiPfPi.has_dyn_sized_stack, 0
	.set _Z13computeKerneliiPKfPKbiiPfPi.has_recursion, 0
	.set _Z13computeKerneliiPKfPKbiiPfPi.has_indirect_call, 0
	.section	.AMDGPU.csdata,"",@progbits
; Kernel info:
; codeLenInByte = 8344
; TotalNumSgprs: 48
; NumVgprs: 35
; NumAgprs: 0
; TotalNumVgprs: 35
; ScratchSize: 224
; MemoryBound: 0
; FloatMode: 240
; IeeeMode: 1
; LDSByteSize: 0 bytes/workgroup (compile time only)
; SGPRBlocks: 5
; VGPRBlocks: 4
; NumSGPRsForWavesPerEU: 48
; NumVGPRsForWavesPerEU: 35
; AccumOffset: 36
; Occupancy: 8
; WaveLimiterHint : 0
; COMPUTE_PGM_RSRC2:SCRATCH_EN: 1
; COMPUTE_PGM_RSRC2:USER_SGPR: 2
; COMPUTE_PGM_RSRC2:TRAP_HANDLER: 0
; COMPUTE_PGM_RSRC2:TGID_X_EN: 1
; COMPUTE_PGM_RSRC2:TGID_Y_EN: 0
; COMPUTE_PGM_RSRC2:TGID_Z_EN: 0
; COMPUTE_PGM_RSRC2:TIDIG_COMP_CNT: 0
; COMPUTE_PGM_RSRC3_GFX90A:ACCUM_OFFSET: 8
; COMPUTE_PGM_RSRC3_GFX90A:TG_SPLIT: 0
	.text
	.p2alignl 6, 3212836864
	.fill 256, 4, 3212836864
	.section	.AMDGPU.gpr_maximums,"",@progbits
	.set amdgpu.max_num_vgpr, 0
	.set amdgpu.max_num_agpr, 0
	.set amdgpu.max_num_sgpr, 0
	.text
	.type	__const._Z13computeKerneliiPKfPKbiiPfPi.parent,@object ; @__const._Z13computeKerneliiPKfPKbiiPfPi.parent
	.section	.rodata,"a",@progbits
	.p2align	4, 0x0
__const._Z13computeKerneliiPKfPKbiiPfPi.parent:
	.long	4294967295                      ; 0xffffffff
	.long	0                               ; 0x0
	.long	0                               ; 0x0
	;; [unrolled: 1-line block ×4, first 2 shown]
	.size	__const._Z13computeKerneliiPKfPKbiiPfPi.parent, 20

	.type	__hip_cuid_9564cd0011c2f747,@object ; @__hip_cuid_9564cd0011c2f747
	.section	.bss,"aw",@nobits
	.globl	__hip_cuid_9564cd0011c2f747
__hip_cuid_9564cd0011c2f747:
	.byte	0                               ; 0x0
	.size	__hip_cuid_9564cd0011c2f747, 1

	.ident	"AMD clang version 22.0.0git (https://github.com/RadeonOpenCompute/llvm-project roc-7.2.4 26084 f58b06dce1f9c15707c5f808fd002e18c2accf7e)"
	.section	".note.GNU-stack","",@progbits
	.addrsig
	.addrsig_sym __hip_cuid_9564cd0011c2f747
	.amdgpu_metadata
---
amdhsa.kernels:
  - .agpr_count:     0
    .args:
      - .offset:         0
        .size:           4
        .value_kind:     by_value
      - .address_space:  global
        .offset:         8
        .size:           8
        .value_kind:     global_buffer
      - .address_space:  global
        .offset:         16
        .size:           8
        .value_kind:     global_buffer
      - .address_space:  global
        .offset:         24
        .size:           8
        .value_kind:     global_buffer
    .group_segment_fixed_size: 0
    .kernarg_segment_align: 8
    .kernarg_segment_size: 32
    .language:       OpenCL C
    .language_version:
      - 2
      - 0
    .max_flat_workgroup_size: 1024
    .name:           _Z14genScoreKerneliPfPKiPKf
    .private_segment_fixed_size: 192
    .sgpr_count:     58
    .sgpr_spill_count: 0
    .symbol:         _Z14genScoreKerneliPfPKiPKf.kd
    .uniform_work_group_size: 1
    .uses_dynamic_stack: false
    .vgpr_count:     66
    .vgpr_spill_count: 0
    .wavefront_size: 64
  - .agpr_count:     0
    .args:
      - .offset:         0
        .size:           4
        .value_kind:     by_value
      - .offset:         4
        .size:           4
        .value_kind:     by_value
      - .address_space:  global
        .offset:         8
        .size:           8
        .value_kind:     global_buffer
      - .address_space:  global
        .offset:         16
        .size:           8
        .value_kind:     global_buffer
      - .offset:         24
        .size:           4
        .value_kind:     by_value
      - .offset:         28
        .size:           4
        .value_kind:     by_value
      - .address_space:  global
        .offset:         32
        .size:           8
        .value_kind:     global_buffer
      - .address_space:  global
        .offset:         40
        .size:           8
        .value_kind:     global_buffer
    .group_segment_fixed_size: 0
    .kernarg_segment_align: 8
    .kernarg_segment_size: 48
    .language:       OpenCL C
    .language_version:
      - 2
      - 0
    .max_flat_workgroup_size: 1024
    .name:           _Z13computeKerneliiPKfPKbiiPfPi
    .private_segment_fixed_size: 224
    .sgpr_count:     48
    .sgpr_spill_count: 0
    .symbol:         _Z13computeKerneliiPKfPKbiiPfPi.kd
    .uniform_work_group_size: 1
    .uses_dynamic_stack: false
    .vgpr_count:     35
    .vgpr_spill_count: 0
    .wavefront_size: 64
amdhsa.target:   amdgcn-amd-amdhsa--gfx950
amdhsa.version:
  - 1
  - 2
...

	.end_amdgpu_metadata
